;; amdgpu-corpus repo=ROCm/rocFFT kind=compiled arch=gfx950 opt=O3
	.text
	.amdgcn_target "amdgcn-amd-amdhsa--gfx950"
	.amdhsa_code_object_version 6
	.protected	fft_rtc_fwd_len2401_factors_7_7_7_7_wgs_49_tpt_49_halfLds_sp_op_CI_CI_sbrr_dirReg ; -- Begin function fft_rtc_fwd_len2401_factors_7_7_7_7_wgs_49_tpt_49_halfLds_sp_op_CI_CI_sbrr_dirReg
	.globl	fft_rtc_fwd_len2401_factors_7_7_7_7_wgs_49_tpt_49_halfLds_sp_op_CI_CI_sbrr_dirReg
	.p2align	8
	.type	fft_rtc_fwd_len2401_factors_7_7_7_7_wgs_49_tpt_49_halfLds_sp_op_CI_CI_sbrr_dirReg,@function
fft_rtc_fwd_len2401_factors_7_7_7_7_wgs_49_tpt_49_halfLds_sp_op_CI_CI_sbrr_dirReg: ; @fft_rtc_fwd_len2401_factors_7_7_7_7_wgs_49_tpt_49_halfLds_sp_op_CI_CI_sbrr_dirReg
; %bb.0:
	s_load_dwordx4 s[12:15], s[0:1], 0x18
	s_load_dwordx4 s[4:7], s[0:1], 0x0
	;; [unrolled: 1-line block ×3, first 2 shown]
	v_mul_u32_u24_e32 v1, 0x53a, v0
	v_add_u32_sdwa v4, s2, v1 dst_sel:DWORD dst_unused:UNUSED_PAD src0_sel:DWORD src1_sel:WORD_1
	s_waitcnt lgkmcnt(0)
	s_load_dwordx2 s[18:19], s[12:13], 0x0
	s_load_dwordx2 s[16:17], s[14:15], 0x0
	v_mov_b32_e32 v2, 0
	v_cmp_lt_u64_e64 s[2:3], s[6:7], 2
	v_mov_b32_e32 v5, v2
	s_and_b64 vcc, exec, s[2:3]
	v_mov_b64_e32 v[70:71], 0
	s_cbranch_vccnz .LBB0_8
; %bb.1:
	s_load_dwordx2 s[2:3], s[0:1], 0x10
	s_add_u32 s20, s14, 8
	s_addc_u32 s21, s15, 0
	s_add_u32 s22, s12, 8
	s_addc_u32 s23, s13, 0
	s_waitcnt lgkmcnt(0)
	s_add_u32 s24, s2, 8
	v_mov_b64_e32 v[70:71], 0
	s_addc_u32 s25, s3, 0
	s_mov_b64 s[26:27], 1
	v_mov_b64_e32 v[12:13], v[70:71]
.LBB0_2:                                ; =>This Inner Loop Header: Depth=1
	s_load_dwordx2 s[28:29], s[24:25], 0x0
                                        ; implicit-def: $vgpr8_vgpr9
	s_waitcnt lgkmcnt(0)
	v_or_b32_e32 v3, s29, v5
	v_cmp_ne_u64_e32 vcc, 0, v[2:3]
	s_and_saveexec_b64 s[2:3], vcc
	s_xor_b64 s[30:31], exec, s[2:3]
	s_cbranch_execz .LBB0_4
; %bb.3:                                ;   in Loop: Header=BB0_2 Depth=1
	v_cvt_f32_u32_e32 v1, s28
	v_cvt_f32_u32_e32 v3, s29
	s_sub_u32 s2, 0, s28
	s_subb_u32 s3, 0, s29
	v_fmac_f32_e32 v1, 0x4f800000, v3
	v_rcp_f32_e32 v1, v1
	s_nop 0
	v_mul_f32_e32 v1, 0x5f7ffffc, v1
	v_mul_f32_e32 v3, 0x2f800000, v1
	v_trunc_f32_e32 v3, v3
	v_fmac_f32_e32 v1, 0xcf800000, v3
	v_cvt_u32_f32_e32 v3, v3
	v_cvt_u32_f32_e32 v1, v1
	v_mul_lo_u32 v6, s2, v3
	v_mul_hi_u32 v8, s2, v1
	v_mul_lo_u32 v7, s3, v1
	v_add_u32_e32 v8, v8, v6
	v_mul_lo_u32 v10, s2, v1
	v_add_u32_e32 v11, v8, v7
	v_mul_hi_u32 v6, v1, v10
	v_mul_hi_u32 v9, v1, v11
	v_mul_lo_u32 v8, v1, v11
	v_mov_b32_e32 v7, v2
	v_lshl_add_u64 v[6:7], v[6:7], 0, v[8:9]
	v_mul_hi_u32 v9, v3, v10
	v_mul_lo_u32 v10, v3, v10
	v_add_co_u32_e32 v6, vcc, v6, v10
	v_mul_hi_u32 v8, v3, v11
	s_nop 0
	v_addc_co_u32_e32 v6, vcc, v7, v9, vcc
	v_mov_b32_e32 v7, v2
	s_nop 0
	v_addc_co_u32_e32 v9, vcc, 0, v8, vcc
	v_mul_lo_u32 v8, v3, v11
	v_lshl_add_u64 v[6:7], v[6:7], 0, v[8:9]
	v_add_co_u32_e32 v1, vcc, v1, v6
	v_mul_lo_u32 v8, s2, v1
	s_nop 0
	v_addc_co_u32_e32 v3, vcc, v3, v7, vcc
	v_mul_lo_u32 v6, s2, v3
	v_mul_hi_u32 v7, s2, v1
	v_add_u32_e32 v6, v7, v6
	v_mul_lo_u32 v7, s3, v1
	v_add_u32_e32 v10, v6, v7
	v_mul_hi_u32 v14, v3, v8
	v_mul_lo_u32 v15, v3, v8
	v_mul_hi_u32 v7, v1, v10
	v_mul_lo_u32 v6, v1, v10
	v_mul_hi_u32 v8, v1, v8
	v_mov_b32_e32 v9, v2
	v_lshl_add_u64 v[6:7], v[8:9], 0, v[6:7]
	v_add_co_u32_e32 v6, vcc, v6, v15
	v_mul_hi_u32 v11, v3, v10
	s_nop 0
	v_addc_co_u32_e32 v6, vcc, v7, v14, vcc
	v_mul_lo_u32 v8, v3, v10
	s_nop 0
	v_addc_co_u32_e32 v9, vcc, 0, v11, vcc
	v_mov_b32_e32 v7, v2
	v_lshl_add_u64 v[6:7], v[6:7], 0, v[8:9]
	v_add_co_u32_e32 v1, vcc, v1, v6
	v_mul_hi_u32 v8, v4, v1
	s_nop 0
	v_addc_co_u32_e32 v3, vcc, v3, v7, vcc
	v_mad_u64_u32 v[6:7], s[2:3], v4, v3, 0
	v_mov_b32_e32 v9, v2
	v_lshl_add_u64 v[6:7], v[8:9], 0, v[6:7]
	v_mad_u64_u32 v[10:11], s[2:3], v5, v1, 0
	v_add_co_u32_e32 v1, vcc, v6, v10
	v_mad_u64_u32 v[8:9], s[2:3], v5, v3, 0
	s_nop 0
	v_addc_co_u32_e32 v6, vcc, v7, v11, vcc
	v_mov_b32_e32 v7, v2
	s_nop 0
	v_addc_co_u32_e32 v9, vcc, 0, v9, vcc
	v_lshl_add_u64 v[6:7], v[6:7], 0, v[8:9]
	v_mul_lo_u32 v1, s29, v6
	v_mul_lo_u32 v3, s28, v7
	v_mad_u64_u32 v[8:9], s[2:3], s28, v6, 0
	v_add3_u32 v1, v9, v3, v1
	v_sub_u32_e32 v3, v5, v1
	v_mov_b32_e32 v9, s29
	v_sub_co_u32_e32 v14, vcc, v4, v8
	v_lshl_add_u64 v[10:11], v[6:7], 0, 1
	s_nop 0
	v_subb_co_u32_e64 v3, s[2:3], v3, v9, vcc
	v_subrev_co_u32_e64 v8, s[2:3], s28, v14
	v_subb_co_u32_e32 v1, vcc, v5, v1, vcc
	s_nop 0
	v_subbrev_co_u32_e64 v3, s[2:3], 0, v3, s[2:3]
	v_cmp_le_u32_e64 s[2:3], s29, v3
	v_cmp_le_u32_e32 vcc, s29, v1
	s_nop 0
	v_cndmask_b32_e64 v9, 0, -1, s[2:3]
	v_cmp_le_u32_e64 s[2:3], s28, v8
	s_nop 1
	v_cndmask_b32_e64 v8, 0, -1, s[2:3]
	v_cmp_eq_u32_e64 s[2:3], s29, v3
	s_nop 1
	v_cndmask_b32_e64 v3, v9, v8, s[2:3]
	v_lshl_add_u64 v[8:9], v[6:7], 0, 2
	v_cmp_ne_u32_e64 s[2:3], 0, v3
	s_nop 1
	v_cndmask_b32_e64 v3, v11, v9, s[2:3]
	v_cndmask_b32_e64 v9, 0, -1, vcc
	v_cmp_le_u32_e32 vcc, s28, v14
	s_nop 1
	v_cndmask_b32_e64 v11, 0, -1, vcc
	v_cmp_eq_u32_e32 vcc, s29, v1
	s_nop 1
	v_cndmask_b32_e32 v1, v9, v11, vcc
	v_cmp_ne_u32_e32 vcc, 0, v1
	v_cndmask_b32_e64 v1, v10, v8, s[2:3]
	s_nop 0
	v_cndmask_b32_e32 v9, v7, v3, vcc
	v_cndmask_b32_e32 v8, v6, v1, vcc
.LBB0_4:                                ;   in Loop: Header=BB0_2 Depth=1
	s_andn2_saveexec_b64 s[2:3], s[30:31]
	s_cbranch_execz .LBB0_6
; %bb.5:                                ;   in Loop: Header=BB0_2 Depth=1
	v_cvt_f32_u32_e32 v1, s28
	s_sub_i32 s30, 0, s28
	v_mov_b32_e32 v9, v2
	v_rcp_iflag_f32_e32 v1, v1
	s_nop 0
	v_mul_f32_e32 v1, 0x4f7ffffe, v1
	v_cvt_u32_f32_e32 v1, v1
	v_mul_lo_u32 v3, s30, v1
	v_mul_hi_u32 v3, v1, v3
	v_add_u32_e32 v1, v1, v3
	v_mul_hi_u32 v1, v4, v1
	v_mul_lo_u32 v3, v1, s28
	v_sub_u32_e32 v3, v4, v3
	v_add_u32_e32 v6, 1, v1
	v_subrev_u32_e32 v7, s28, v3
	v_cmp_le_u32_e32 vcc, s28, v3
	s_nop 1
	v_cndmask_b32_e32 v3, v3, v7, vcc
	v_cndmask_b32_e32 v1, v1, v6, vcc
	v_add_u32_e32 v6, 1, v1
	v_cmp_le_u32_e32 vcc, s28, v3
	s_nop 1
	v_cndmask_b32_e32 v8, v1, v6, vcc
.LBB0_6:                                ;   in Loop: Header=BB0_2 Depth=1
	s_or_b64 exec, exec, s[2:3]
	v_mad_u64_u32 v[6:7], s[2:3], v8, s28, 0
	s_load_dwordx2 s[2:3], s[22:23], 0x0
	v_mul_lo_u32 v1, v9, s28
	v_mul_lo_u32 v3, v8, s29
	s_load_dwordx2 s[28:29], s[20:21], 0x0
	s_add_u32 s26, s26, 1
	v_add3_u32 v1, v7, v3, v1
	v_sub_co_u32_e32 v3, vcc, v4, v6
	s_addc_u32 s27, s27, 0
	s_nop 0
	v_subb_co_u32_e32 v1, vcc, v5, v1, vcc
	s_add_u32 s20, s20, 8
	s_waitcnt lgkmcnt(0)
	v_mul_lo_u32 v4, s2, v1
	v_mul_lo_u32 v5, s3, v3
	v_mad_u64_u32 v[70:71], s[2:3], s2, v3, v[70:71]
	s_addc_u32 s21, s21, 0
	v_add3_u32 v71, v5, v71, v4
	v_mul_lo_u32 v1, s28, v1
	v_mul_lo_u32 v4, s29, v3
	v_mad_u64_u32 v[12:13], s[2:3], s28, v3, v[12:13]
	s_add_u32 s22, s22, 8
	v_add3_u32 v13, v4, v13, v1
	s_addc_u32 s23, s23, 0
	v_mov_b64_e32 v[4:5], s[6:7]
	s_add_u32 s24, s24, 8
	v_cmp_ge_u64_e32 vcc, s[26:27], v[4:5]
	s_addc_u32 s25, s25, 0
	s_cbranch_vccnz .LBB0_9
; %bb.7:                                ;   in Loop: Header=BB0_2 Depth=1
	v_mov_b64_e32 v[4:5], v[8:9]
	s_branch .LBB0_2
.LBB0_8:
	v_mov_b64_e32 v[12:13], v[70:71]
	v_mov_b64_e32 v[8:9], v[4:5]
.LBB0_9:
	s_load_dwordx2 s[0:1], s[0:1], 0x28
	s_lshl_b64 s[6:7], s[6:7], 3
	s_add_u32 s2, s14, s6
	s_addc_u32 s3, s15, s7
                                        ; implicit-def: $sgpr14_sgpr15
                                        ; implicit-def: $vgpr161
                                        ; implicit-def: $vgpr103
                                        ; implicit-def: $vgpr117
                                        ; implicit-def: $vgpr109
                                        ; implicit-def: $vgpr121
                                        ; implicit-def: $vgpr123
                                        ; implicit-def: $vgpr165
	s_waitcnt lgkmcnt(0)
	v_cmp_gt_u64_e32 vcc, s[0:1], v[8:9]
	v_cmp_le_u64_e64 s[0:1], s[0:1], v[8:9]
	s_and_saveexec_b64 s[20:21], s[0:1]
	s_xor_b64 s[0:1], exec, s[20:21]
; %bb.10:
	s_mov_b32 s14, 0x539782a
	v_mul_hi_u32 v1, v0, s14
	v_mul_u32_u24_e32 v1, 49, v1
	v_sub_u32_e32 v161, v0, v1
	v_add_u32_e32 v103, 49, v161
	v_add_u32_e32 v117, 0x62, v161
	;; [unrolled: 1-line block ×6, first 2 shown]
	s_mov_b64 s[14:15], 0
                                        ; implicit-def: $vgpr0
                                        ; implicit-def: $vgpr70_vgpr71
; %bb.11:
	s_or_saveexec_b64 s[0:1], s[0:1]
	v_mov_b64_e32 v[82:83], s[14:15]
	v_mov_b64_e32 v[84:85], s[14:15]
	v_mov_b64_e32 v[86:87], s[14:15]
	v_mov_b64_e32 v[80:81], s[14:15]
	v_mov_b64_e32 v[72:73], s[14:15]
	v_mov_b64_e32 v[38:39], s[14:15]
	v_mov_b64_e32 v[74:75], s[14:15]
	v_mov_b64_e32 v[36:37], s[14:15]
	v_mov_b64_e32 v[64:65], s[14:15]
	v_mov_b64_e32 v[32:33], s[14:15]
	v_mov_b64_e32 v[66:67], s[14:15]
	v_mov_b64_e32 v[30:31], s[14:15]
	v_mov_b64_e32 v[56:57], s[14:15]
	v_mov_b64_e32 v[26:27], s[14:15]
	v_mov_b64_e32 v[52:53], s[14:15]
	v_mov_b64_e32 v[24:25], s[14:15]
	v_mov_b64_e32 v[50:51], s[14:15]
	v_mov_b64_e32 v[20:21], s[14:15]
	v_mov_b64_e32 v[48:49], s[14:15]
	v_mov_b64_e32 v[18:19], s[14:15]
	v_mov_b64_e32 v[46:47], s[14:15]
	v_mov_b64_e32 v[10:11], s[14:15]
	v_mov_b64_e32 v[44:45], s[14:15]
	v_mov_b64_e32 v[4:5], s[14:15]
	v_mov_b64_e32 v[40:41], s[14:15]
	v_mov_b64_e32 v[2:3], s[14:15]
	v_mov_b64_e32 v[42:43], s[14:15]
	v_mov_b64_e32 v[6:7], s[14:15]
                                        ; implicit-def: $vgpr106
                                        ; implicit-def: $vgpr14
                                        ; implicit-def: $vgpr96
                                        ; implicit-def: $vgpr110
                                        ; implicit-def: $vgpr16
                                        ; implicit-def: $vgpr54
                                        ; implicit-def: $vgpr60
                                        ; implicit-def: $vgpr22
                                        ; implicit-def: $vgpr58
                                        ; implicit-def: $vgpr76
                                        ; implicit-def: $vgpr28
                                        ; implicit-def: $vgpr68
                                        ; implicit-def: $vgpr88
                                        ; implicit-def: $vgpr34
                                        ; implicit-def: $vgpr78
                                        ; implicit-def: $vgpr92
                                        ; implicit-def: $vgpr62
                                        ; implicit-def: $vgpr90
                                        ; implicit-def: $vgpr100
                                        ; implicit-def: $vgpr94
                                        ; implicit-def: $vgpr98
	s_xor_b64 exec, exec, s[0:1]
	s_cbranch_execz .LBB0_13
; %bb.12:
	s_add_u32 s6, s12, s6
	s_addc_u32 s7, s13, s7
	s_load_dwordx2 s[6:7], s[6:7], 0x0
	s_mov_b32 s12, 0x539782a
	s_waitcnt lgkmcnt(0)
	v_mul_lo_u32 v1, s7, v8
	v_mul_lo_u32 v2, s6, v9
	v_mad_u64_u32 v[4:5], s[6:7], s6, v8, 0
	v_add3_u32 v5, v5, v2, v1
	v_mul_hi_u32 v1, v0, s12
	v_mul_u32_u24_e32 v1, 49, v1
	v_sub_u32_e32 v161, v0, v1
	v_mad_u64_u32 v[2:3], s[6:7], s18, v161, 0
	v_mov_b32_e32 v0, v3
	v_mad_u64_u32 v[0:1], s[6:7], s19, v161, v[0:1]
	v_add_u32_e32 v7, 0x157, v161
	v_mov_b32_e32 v3, v0
	v_lshl_add_u64 v[0:1], v[4:5], 3, s[8:9]
	v_mad_u64_u32 v[4:5], s[6:7], s18, v7, 0
	v_mov_b32_e32 v6, v5
	v_mad_u64_u32 v[6:7], s[6:7], s19, v7, v[6:7]
	v_add_u32_e32 v11, 0x2ae, v161
	v_mov_b32_e32 v5, v6
	v_mad_u64_u32 v[6:7], s[6:7], s18, v11, 0
	v_mov_b32_e32 v10, v7
	v_mad_u64_u32 v[10:11], s[6:7], s19, v11, v[10:11]
	v_add_u32_e32 v15, 0x405, v161
	v_mov_b32_e32 v7, v10
	;; [unrolled: 5-line block ×29, first 2 shown]
	v_mad_u64_u32 v[66:67], s[6:7], s18, v69, 0
	v_mov_b32_e32 v68, v67
	v_lshl_add_u64 v[0:1], v[70:71], 3, v[0:1]
	v_mad_u64_u32 v[68:69], s[6:7], s19, v69, v[68:69]
	v_add_u32_e32 v71, 0x4c9, v161
	v_mov_b32_e32 v67, v68
	v_mad_u64_u32 v[68:69], s[6:7], s18, v71, 0
	v_mov_b32_e32 v70, v69
	v_mad_u64_u32 v[70:71], s[6:7], s19, v71, v[70:71]
	v_add_u32_e32 v73, 0x620, v161
	v_mov_b32_e32 v69, v70
	v_mad_u64_u32 v[70:71], s[6:7], s18, v73, 0
	v_mov_b32_e32 v72, v71
	;; [unrolled: 5-line block ×18, first 2 shown]
	v_mad_u64_u32 v[106:107], s[6:7], s19, v106, v[102:103]
	v_mov_b32_e32 v105, v106
	v_lshl_add_u64 v[2:3], v[2:3], 3, v[0:1]
	v_lshl_add_u64 v[4:5], v[4:5], 3, v[0:1]
	;; [unrolled: 1-line block ×49, first 2 shown]
	global_load_dwordx2 v[80:81], v[2:3], off
	global_load_dwordx2 v[82:83], v[4:5], off
	;; [unrolled: 1-line block ×9, first 2 shown]
                                        ; kill: killed $vgpr2_vgpr3
                                        ; kill: killed $vgpr16_vgpr17
                                        ; kill: killed $vgpr10_vgpr11
                                        ; kill: killed $vgpr18_vgpr19
                                        ; kill: killed $vgpr22_vgpr23
                                        ; kill: killed $vgpr14_vgpr15
                                        ; kill: killed $vgpr6_vgpr7
                                        ; kill: killed $vgpr20_vgpr21
                                        ; kill: killed $vgpr4_vgpr5
	global_load_dwordx2 v[38:39], v[24:25], off
	global_load_dwordx2 v[90:91], v[26:27], off
	;; [unrolled: 1-line block ×9, first 2 shown]
                                        ; kill: killed $vgpr40_vgpr41
                                        ; kill: killed $vgpr110_vgpr111
                                        ; kill: killed $vgpr28_vgpr29
                                        ; kill: killed $vgpr24_vgpr25
                                        ; kill: killed $vgpr114_vgpr115
                                        ; kill: killed $vgpr112_vgpr113
                                        ; kill: killed $vgpr34_vgpr35
                                        ; kill: killed $vgpr106_vgpr107
                                        ; kill: killed $vgpr26_vgpr27
	global_load_dwordx2 v[66:67], v[42:43], off
	s_nop 0
	global_load_dwordx2 v[34:35], v[44:45], off
	global_load_dwordx2 v[88:89], v[46:47], off
	;; [unrolled: 1-line block ×8, first 2 shown]
                                        ; kill: killed $vgpr58_vgpr59
                                        ; kill: killed $vgpr54_vgpr55
                                        ; kill: killed $vgpr46_vgpr47
                                        ; kill: killed $vgpr42_vgpr43
                                        ; kill: killed $vgpr124_vgpr125
                                        ; kill: killed $vgpr118_vgpr119
                                        ; kill: killed $vgpr50_vgpr51
                                        ; kill: killed $vgpr48_vgpr49
                                        ; kill: killed $vgpr44_vgpr45
	global_load_dwordx2 v[76:77], v[126:127], off
	global_load_dwordx2 v[18:19], v[128:129], off
	;; [unrolled: 1-line block ×4, first 2 shown]
	s_nop 0
	global_load_dwordx2 v[58:59], v[134:135], off
	global_load_dwordx2 v[48:49], v[70:71], off
	;; [unrolled: 1-line block ×5, first 2 shown]
                                        ; kill: killed $vgpr128_vgpr129
                                        ; kill: killed $vgpr140_vgpr141
                                        ; kill: killed $vgpr136_vgpr137
                                        ; kill: killed $vgpr134_vgpr135
                                        ; kill: killed $vgpr126_vgpr127
                                        ; kill: killed $vgpr138_vgpr139
                                        ; kill: killed $vgpr70_vgpr71
                                        ; kill: killed $vgpr132_vgpr133
                                        ; kill: killed $vgpr130_vgpr131
	global_load_dwordx2 v[46:47], v[142:143], off
	global_load_dwordx2 v[10:11], v[144:145], off
	;; [unrolled: 1-line block ×9, first 2 shown]
                                        ; kill: killed $vgpr154_vgpr155
                                        ; kill: killed $vgpr150_vgpr151
                                        ; kill: killed $vgpr146_vgpr147
                                        ; kill: killed $vgpr152_vgpr153
                                        ; kill: killed $vgpr148_vgpr149
                                        ; kill: killed $vgpr144_vgpr145
                                        ; kill: killed $vgpr158_vgpr159
                                        ; kill: killed $vgpr142_vgpr143
                                        ; kill: killed $vgpr156_vgpr157
	global_load_dwordx2 v[96:97], v[162:163], off
	global_load_dwordx2 v[42:43], v[166:167], off
	;; [unrolled: 1-line block ×4, first 2 shown]
.LBB0_13:
	s_or_b64 exec, exec, s[0:1]
	s_waitcnt vmcnt(42)
	v_add_f32_e32 v115, v100, v82
	v_add_f32_e32 v119, v101, v83
	v_sub_f32_e32 v0, v82, v100
	v_sub_f32_e32 v1, v83, v101
	;; [unrolled: 1-line block ×6, first 2 shown]
	v_add_f32_e32 v120, v99, v87
	v_sub_f32_e32 v100, v82, v70
	v_sub_f32_e32 v101, v83, v71
	s_load_dwordx2 s[14:15], s[2:3], 0x0
	v_add_f32_e32 v184, v98, v86
	v_sub_f32_e32 v87, v119, v120
	v_add_f32_e32 v98, v70, v82
	v_add_f32_e32 v99, v71, v83
	v_sub_f32_e32 v70, v70, v0
	v_sub_f32_e32 v71, v71, v1
	v_mul_f32_e32 v124, 0xbf08b237, v100
	v_mul_f32_e32 v182, 0xbf08b237, v101
	s_mov_b32 s2, 0x3f5ff5aa
	v_sub_f32_e32 v86, v115, v184
	v_sub_f32_e32 v82, v0, v82
	;; [unrolled: 1-line block ×3, first 2 shown]
	v_add_f32_e32 v0, v0, v98
	v_add_f32_e32 v1, v1, v99
	v_mul_f32_e32 v118, 0x3f4a47b2, v87
	v_mul_f32_e32 v87, 0x3f5ff5aa, v71
	v_fma_f32 v116, v70, s2, -v124
	v_fma_f32 v176, v71, s2, -v182
	s_mov_b32 s1, 0xbeae86e6
	v_mul_f32_e32 v178, 0x3f4a47b2, v86
	v_mul_f32_e32 v122, 0x3ee1c552, v0
	;; [unrolled: 1-line block ×4, first 2 shown]
	v_fmac_f32_e32 v182, 0x3eae86e6, v83
	v_fma_f32 v183, v83, s1, -v87
	v_fmac_f32_e32 v116, 0x3ee1c552, v0
	v_fmac_f32_e32 v176, 0x3ee1c552, v1
	s_waitcnt vmcnt(35)
	v_add_f32_e32 v99, v92, v72
	v_add_f32_e32 v83, v93, v73
	v_sub_f32_e32 v0, v72, v92
	v_sub_f32_e32 v1, v73, v93
	;; [unrolled: 1-line block ×6, first 2 shown]
	v_add_f32_e32 v174, v90, v74
	v_add_f32_e32 v108, v91, v75
	v_sub_f32_e32 v87, v72, v70
	v_sub_f32_e32 v90, v73, v71
	v_fmac_f32_e32 v124, 0x3eae86e6, v82
	v_fma_f32 v125, v82, s1, -v86
	v_sub_f32_e32 v75, v83, v108
	v_add_f32_e32 v82, v70, v72
	v_add_f32_e32 v86, v71, v73
	v_sub_f32_e32 v70, v70, v0
	v_sub_f32_e32 v71, v71, v1
	v_mul_f32_e32 v104, 0xbf08b237, v87
	v_mul_f32_e32 v172, 0xbf08b237, v90
	v_sub_f32_e32 v72, v0, v72
	v_sub_f32_e32 v73, v1, v73
	v_add_f32_e32 v0, v0, v82
	v_add_f32_e32 v1, v1, v86
	v_mul_f32_e32 v100, 0x3f4a47b2, v75
	v_mul_f32_e32 v75, 0x3f5ff5aa, v71
	v_fma_f32 v98, v70, s2, -v104
	v_fma_f32 v166, v71, s2, -v172
	v_sub_f32_e32 v74, v99, v174
	v_mul_f32_e32 v102, 0x3ee1c552, v0
	v_mul_f32_e32 v170, 0x3ee1c552, v1
	v_fmac_f32_e32 v172, 0x3eae86e6, v73
	v_fma_f32 v173, v73, s1, -v75
	v_fmac_f32_e32 v98, 0x3ee1c552, v0
	v_fmac_f32_e32 v166, 0x3ee1c552, v1
	s_waitcnt vmcnt(28)
	v_add_f32_e32 v87, v88, v64
	v_add_f32_e32 v73, v89, v65
	v_sub_f32_e32 v0, v64, v88
	v_sub_f32_e32 v1, v65, v89
	;; [unrolled: 1-line block ×4, first 2 shown]
	v_add_f32_e32 v164, v78, v66
	v_add_f32_e32 v92, v79, v67
	v_sub_f32_e32 v66, v66, v78
	v_sub_f32_e32 v67, v67, v79
	v_mul_f32_e32 v168, 0x3f4a47b2, v74
	v_mul_f32_e32 v74, 0x3f5ff5aa, v70
	v_sub_f32_e32 v75, v66, v64
	v_sub_f32_e32 v78, v67, v65
	v_fmac_f32_e32 v104, 0x3eae86e6, v72
	v_fma_f32 v105, v72, s1, -v74
	v_sub_f32_e32 v71, v73, v92
	v_add_f32_e32 v72, v64, v66
	v_add_f32_e32 v74, v65, v67
	v_sub_f32_e32 v64, v64, v0
	v_sub_f32_e32 v65, v65, v1
	v_mul_f32_e32 v90, 0xbf08b237, v75
	v_mul_f32_e32 v162, 0xbf08b237, v78
	v_sub_f32_e32 v66, v0, v66
	v_sub_f32_e32 v67, v1, v67
	v_add_f32_e32 v0, v0, v72
	v_add_f32_e32 v1, v1, v74
	v_mul_f32_e32 v86, 0x3f4a47b2, v71
	v_mul_f32_e32 v71, 0x3f5ff5aa, v65
	v_fma_f32 v82, v64, s2, -v90
	v_fma_f32 v156, v65, s2, -v162
	v_sub_f32_e32 v70, v87, v164
	v_mul_f32_e32 v88, 0x3ee1c552, v0
	v_mul_f32_e32 v160, 0x3ee1c552, v1
	v_fma_f32 v163, v67, s1, -v71
	v_fmac_f32_e32 v82, 0x3ee1c552, v0
	v_fmac_f32_e32 v156, 0x3ee1c552, v1
	s_waitcnt vmcnt(21)
	v_add_f32_e32 v75, v76, v56
	v_add_f32_e32 v71, v77, v57
	v_sub_f32_e32 v0, v56, v76
	v_sub_f32_e32 v1, v57, v77
	;; [unrolled: 1-line block ×4, first 2 shown]
	v_add_f32_e32 v154, v68, v52
	v_add_f32_e32 v78, v69, v53
	v_sub_f32_e32 v52, v52, v68
	v_sub_f32_e32 v53, v53, v69
	v_mul_f32_e32 v158, 0x3f4a47b2, v70
	v_mul_f32_e32 v70, 0x3f5ff5aa, v64
	v_sub_f32_e32 v68, v52, v56
	v_sub_f32_e32 v69, v53, v57
	v_fmac_f32_e32 v90, 0x3eae86e6, v66
	v_fmac_f32_e32 v162, 0x3eae86e6, v67
	v_fma_f32 v91, v66, s1, -v70
	v_sub_f32_e32 v65, v71, v78
	v_add_f32_e32 v66, v56, v52
	v_add_f32_e32 v67, v57, v53
	v_sub_f32_e32 v56, v56, v0
	v_sub_f32_e32 v57, v57, v1
	v_mul_f32_e32 v76, 0xbf08b237, v68
	v_mul_f32_e32 v152, 0xbf08b237, v69
	v_sub_f32_e32 v52, v0, v52
	v_sub_f32_e32 v53, v1, v53
	v_add_f32_e32 v0, v0, v66
	v_add_f32_e32 v1, v1, v67
	v_mul_f32_e32 v72, 0x3f4a47b2, v65
	v_mul_f32_e32 v65, 0x3f5ff5aa, v57
	v_fma_f32 v70, v56, s2, -v76
	v_fma_f32 v146, v57, s2, -v152
	v_mul_f32_e32 v74, 0x3ee1c552, v0
	v_mul_f32_e32 v150, 0x3ee1c552, v1
	v_fmac_f32_e32 v152, 0x3eae86e6, v53
	v_fma_f32 v153, v53, s1, -v65
	v_fmac_f32_e32 v70, 0x3ee1c552, v0
	v_fmac_f32_e32 v146, 0x3ee1c552, v1
	s_waitcnt vmcnt(14)
	v_add_f32_e32 v53, v60, v50
	v_add_f32_e32 v65, v61, v51
	v_sub_f32_e32 v0, v50, v60
	v_sub_f32_e32 v1, v51, v61
	;; [unrolled: 1-line block ×4, first 2 shown]
	v_add_f32_e32 v144, v58, v48
	v_add_f32_e32 v68, v59, v49
	v_sub_f32_e32 v48, v48, v58
	v_sub_f32_e32 v49, v49, v59
	v_sub_f32_e32 v64, v75, v154
	v_sub_f32_e32 v59, v48, v50
	v_sub_f32_e32 v61, v49, v51
	v_mul_f32_e32 v148, 0x3f4a47b2, v64
	v_mul_f32_e32 v64, 0x3f5ff5aa, v56
	v_sub_f32_e32 v56, v65, v68
	v_add_f32_e32 v57, v50, v48
	v_add_f32_e32 v58, v51, v49
	v_sub_f32_e32 v50, v50, v0
	v_sub_f32_e32 v51, v51, v1
	v_mul_f32_e32 v66, 0xbf08b237, v59
	v_mul_f32_e32 v142, 0xbf08b237, v61
	v_sub_f32_e32 v48, v0, v48
	v_sub_f32_e32 v49, v1, v49
	v_add_f32_e32 v0, v0, v57
	v_add_f32_e32 v1, v1, v58
	v_mul_f32_e32 v60, 0x3f4a47b2, v56
	v_mul_f32_e32 v56, 0x3f5ff5aa, v51
	v_fma_f32 v58, v50, s2, -v66
	v_fma_f32 v136, v51, s2, -v142
	v_fmac_f32_e32 v76, 0x3eae86e6, v52
	v_fma_f32 v77, v52, s1, -v64
	v_sub_f32_e32 v52, v53, v144
	v_mul_f32_e32 v64, 0x3ee1c552, v0
	v_mul_f32_e32 v140, 0x3ee1c552, v1
	v_fmac_f32_e32 v142, 0x3eae86e6, v49
	v_fma_f32 v143, v49, s1, -v56
	v_fmac_f32_e32 v58, 0x3ee1c552, v0
	v_fmac_f32_e32 v136, 0x3ee1c552, v1
	s_waitcnt vmcnt(7)
	v_add_f32_e32 v51, v110, v46
	v_add_f32_e32 v49, v111, v47
	v_sub_f32_e32 v0, v46, v110
	v_sub_f32_e32 v1, v47, v111
	;; [unrolled: 1-line block ×4, first 2 shown]
	v_add_f32_e32 v134, v54, v44
	v_add_f32_e32 v56, v55, v45
	v_sub_f32_e32 v44, v44, v54
	v_sub_f32_e32 v45, v45, v55
	v_mul_f32_e32 v138, 0x3f4a47b2, v52
	v_mul_f32_e32 v52, 0x3f5ff5aa, v50
	v_add_f32_e32 v54, v47, v45
	v_sub_f32_e32 v55, v44, v46
	v_sub_f32_e32 v57, v45, v47
	v_fmac_f32_e32 v66, 0x3eae86e6, v48
	v_fma_f32 v67, v48, s1, -v52
	v_sub_f32_e32 v48, v51, v134
	v_sub_f32_e32 v50, v49, v56
	v_add_f32_e32 v52, v46, v44
	v_sub_f32_e32 v45, v1, v45
	v_sub_f32_e32 v46, v46, v0
	v_sub_f32_e32 v47, v47, v1
	v_add_f32_e32 v1, v1, v54
	v_mul_f32_e32 v54, 0xbf08b237, v55
	v_mul_f32_e32 v132, 0xbf08b237, v57
	v_sub_f32_e32 v44, v0, v44
	v_add_f32_e32 v0, v0, v52
	v_mul_f32_e32 v128, 0x3f4a47b2, v48
	v_mul_f32_e32 v48, 0x3f4a47b2, v50
	;; [unrolled: 1-line block ×3, first 2 shown]
	v_fma_f32 v50, v46, s2, -v54
	v_fma_f32 v126, v47, s2, -v132
	v_add_f32_e32 v186, v94, v84
	v_mul_f32_e32 v52, 0x3ee1c552, v0
	v_mul_f32_e32 v130, 0x3ee1c552, v1
	;; [unrolled: 1-line block ×3, first 2 shown]
	v_fmac_f32_e32 v54, 0x3eae86e6, v44
	v_fma_f32 v55, v44, s1, -v55
	v_fmac_f32_e32 v50, 0x3ee1c552, v0
	v_fmac_f32_e32 v126, 0x3ee1c552, v1
	s_waitcnt vmcnt(0)
	v_add_f32_e32 v47, v106, v40
	v_add_f32_e32 v1, v107, v41
	v_sub_f32_e32 v0, v40, v106
	v_sub_f32_e32 v40, v41, v107
	;; [unrolled: 1-line block ×4, first 2 shown]
	v_add_f32_e32 v114, v96, v42
	v_add_f32_e32 v46, v97, v43
	v_sub_f32_e32 v42, v42, v96
	v_sub_f32_e32 v43, v43, v97
	v_add_f32_e32 v187, v115, v186
	v_fma_f32 v133, v45, s1, -v57
	v_sub_f32_e32 v57, v1, v46
	v_add_f32_e32 v59, v41, v42
	v_sub_f32_e32 v79, v43, v44
	v_sub_f32_e32 v93, v44, v40
	v_pk_add_f32 v[188:189], v[184:185], v[186:187] neg_lo:[0,1] neg_hi:[0,1]
	v_pk_add_f32 v[184:185], v[184:185], v[186:187] op_sel_hi:[0,1]
	s_mov_b32 s18, 0x3d64c772
	v_add_f32_e32 v61, v44, v43
	v_sub_f32_e32 v69, v42, v41
	v_sub_f32_e32 v89, v0, v42
	;; [unrolled: 1-line block ×4, first 2 shown]
	v_add_f32_e32 v59, v0, v59
	v_mul_f32_e32 v0, 0x3f4a47b2, v57
	v_mul_f32_e32 v112, 0xbf08b237, v79
	;; [unrolled: 1-line block ×3, first 2 shown]
	v_mov_b32_e32 v184, v188
	v_add_f32_e32 v179, v185, v80
	s_mov_b32 s19, 0x3f955555
	v_fma_f32 v96, v93, s2, -v112
	v_fmac_f32_e32 v112, 0x3eae86e6, v43
	v_fma_f32 v113, v43, s1, -v57
	v_sub_f32_e32 v43, v186, v115
	v_pk_mul_f32 v[186:187], v[188:189], s[18:19]
	v_pk_fma_f32 v[188:189], v[184:185], s[18:19], v[178:179]
	v_pk_fma_f32 v[184:185], v[184:185], s[18:19], v[178:179] neg_lo:[1,0,0] neg_hi:[1,0,0]
	s_mov_b32 s12, 0x3f3bfb3b
	s_mov_b32 s3, 0xbf3bfb3b
	v_fmac_f32_e32 v132, 0x3eae86e6, v45
	v_sub_f32_e32 v45, v47, v114
	v_mul_f32_e32 v44, 0xbf08b237, v69
	v_mov_b32_e32 v189, v185
	v_fma_f32 v57, v43, s12, -v186
	v_fma_f32 v187, v43, s3, -v178
	v_mov_b32_e32 v186, v185
	v_add_f32_e32 v61, v40, v61
	v_mul_f32_e32 v106, 0x3f4a47b2, v45
	v_mul_f32_e32 v45, 0x3f5ff5aa, v41
	v_fma_f32 v40, v41, s2, -v44
	v_mad_u32_u24 v41, v161, 28, 0
	v_add_f32_e32 v80, v57, v185
	v_pk_add_f32 v[184:185], v[188:189], v[186:187]
	v_pk_add_f32 v[180:181], v[182:183], v[180:181] op_sel_hi:[1,0]
	v_pk_add_f32 v[170:171], v[172:173], v[170:171] op_sel_hi:[1,0]
	v_pk_add_f32 v[182:183], v[184:185], v[180:181]
	ds_write_b32 v41, v179
	ds_write2_b32 v41, v182, v183 offset0:1 offset1:2
	v_pk_add_f32 v[178:179], v[80:81], v[176:177] neg_lo:[0,1] neg_hi:[0,1]
	v_pk_add_f32 v[176:177], v[80:81], v[176:177]
	ds_write2_b32 v41, v178, v176 offset0:3 offset1:4
	v_pk_add_f32 v[176:177], v[184:185], v[180:181] neg_lo:[0,1] neg_hi:[0,1]
	ds_write2_b32 v41, v177, v176 offset0:5 offset1:6
	v_add_f32_e32 v176, v62, v38
	v_add_f32_e32 v177, v99, v176
	v_pk_add_f32 v[178:179], v[174:175], v[176:177] neg_lo:[0,1] neg_hi:[0,1]
	v_pk_add_f32 v[174:175], v[174:175], v[176:177] op_sel_hi:[0,1]
	v_mov_b32_e32 v174, v178
	v_add_f32_e32 v169, v175, v36
	v_sub_f32_e32 v38, v176, v99
	v_pk_mul_f32 v[176:177], v[178:179], s[18:19]
	v_pk_fma_f32 v[178:179], v[174:175], s[18:19], v[168:169]
	v_pk_fma_f32 v[174:175], v[174:175], s[18:19], v[168:169] neg_lo:[1,0,0] neg_hi:[1,0,0]
	v_fma_f32 v36, v38, s12, -v176
	v_mov_b32_e32 v179, v175
	v_fma_f32 v177, v38, s3, -v168
	v_mov_b32_e32 v176, v175
	v_add_f32_e32 v36, v36, v175
	v_pk_add_f32 v[174:175], v[178:179], v[176:177]
	v_mad_i32_i24 v167, v103, 28, 0
	v_pk_add_f32 v[172:173], v[174:175], v[170:171]
	ds_write_b32 v167, v169
	ds_write2_b32 v167, v172, v173 offset0:1 offset1:2
	v_pk_add_f32 v[168:169], v[36:37], v[166:167] neg_lo:[0,1] neg_hi:[0,1]
	v_pk_add_f32 v[172:173], v[36:37], v[166:167]
	ds_write2_b32 v167, v168, v172 offset0:3 offset1:4
	v_pk_add_f32 v[168:169], v[174:175], v[170:171] neg_lo:[0,1] neg_hi:[0,1]
	ds_write2_b32 v167, v169, v168 offset0:5 offset1:6
	v_add_f32_e32 v168, v34, v32
	v_add_f32_e32 v169, v87, v168
	v_sub_f32_e32 v32, v168, v87
	v_pk_add_f32 v[170:171], v[164:165], v[168:169] neg_lo:[0,1] neg_hi:[0,1]
	v_pk_add_f32 v[168:169], v[164:165], v[168:169] op_sel_hi:[0,1]
	v_mov_b32_e32 v168, v170
	v_add_f32_e32 v159, v169, v30
	v_pk_mul_f32 v[170:171], v[170:171], s[18:19]
	v_pk_fma_f32 v[172:173], v[168:169], s[18:19], v[158:159]
	v_pk_fma_f32 v[168:169], v[168:169], s[18:19], v[158:159] neg_lo:[1,0,0] neg_hi:[1,0,0]
	v_fma_f32 v30, v32, s12, -v170
	v_mov_b32_e32 v173, v169
	v_fma_f32 v171, v32, s3, -v158
	v_mov_b32_e32 v170, v169
	v_mad_i32_i24 v166, v117, 28, 0
	v_add_f32_e32 v30, v30, v169
	v_pk_add_f32 v[168:169], v[172:173], v[170:171]
	v_pk_add_f32 v[162:163], v[162:163], v[160:161] op_sel_hi:[1,0]
	v_mad_i32_i24 v99, v109, 28, 0
	v_pk_add_f32 v[170:171], v[168:169], v[162:163]
	ds_write_b32 v166, v159
	ds_write2_b32 v166, v170, v171 offset0:1 offset1:2
	v_pk_add_f32 v[158:159], v[30:31], v[156:157] neg_lo:[0,1] neg_hi:[0,1]
	v_pk_add_f32 v[156:157], v[30:31], v[156:157]
	ds_write2_b32 v166, v158, v156 offset0:3 offset1:4
	v_pk_add_f32 v[156:157], v[168:169], v[162:163] neg_lo:[0,1] neg_hi:[0,1]
	ds_write2_b32 v166, v157, v156 offset0:5 offset1:6
	v_add_f32_e32 v156, v28, v26
	v_add_f32_e32 v157, v75, v156
	v_pk_add_f32 v[158:159], v[154:155], v[156:157] neg_lo:[0,1] neg_hi:[0,1]
	v_pk_add_f32 v[154:155], v[154:155], v[156:157] op_sel_hi:[0,1]
	v_mov_b32_e32 v154, v158
	v_add_f32_e32 v149, v155, v24
	v_sub_f32_e32 v26, v156, v75
	v_pk_mul_f32 v[156:157], v[158:159], s[18:19]
	v_pk_fma_f32 v[158:159], v[154:155], s[18:19], v[148:149]
	v_pk_fma_f32 v[154:155], v[154:155], s[18:19], v[148:149] neg_lo:[1,0,0] neg_hi:[1,0,0]
	v_fma_f32 v24, v26, s12, -v156
	v_mov_b32_e32 v159, v155
	v_fma_f32 v157, v26, s3, -v148
	v_mov_b32_e32 v156, v155
	v_add_f32_e32 v24, v24, v155
	v_pk_add_f32 v[154:155], v[158:159], v[156:157]
	v_pk_add_f32 v[150:151], v[152:153], v[150:151] op_sel_hi:[1,0]
	v_mad_i32_i24 v158, v121, 28, 0
	v_pk_add_f32 v[152:153], v[154:155], v[150:151]
	ds_write_b32 v99, v149
	ds_write2_b32 v99, v152, v153 offset0:1 offset1:2
	v_pk_add_f32 v[148:149], v[24:25], v[146:147] neg_lo:[0,1] neg_hi:[0,1]
	v_pk_add_f32 v[146:147], v[24:25], v[146:147]
	ds_write2_b32 v99, v148, v146 offset0:3 offset1:4
	v_pk_add_f32 v[146:147], v[154:155], v[150:151] neg_lo:[0,1] neg_hi:[0,1]
	ds_write2_b32 v99, v147, v146 offset0:5 offset1:6
	v_add_f32_e32 v146, v22, v20
	v_add_f32_e32 v147, v53, v146
	v_pk_add_f32 v[148:149], v[144:145], v[146:147] neg_lo:[0,1] neg_hi:[0,1]
	v_pk_add_f32 v[144:145], v[144:145], v[146:147] op_sel_hi:[0,1]
	v_mov_b32_e32 v144, v148
	v_add_f32_e32 v139, v145, v18
	v_sub_f32_e32 v20, v146, v53
	v_pk_mul_f32 v[146:147], v[148:149], s[18:19]
	v_pk_fma_f32 v[148:149], v[144:145], s[18:19], v[138:139]
	v_pk_fma_f32 v[144:145], v[144:145], s[18:19], v[138:139] neg_lo:[1,0,0] neg_hi:[1,0,0]
	v_fma_f32 v18, v20, s12, -v146
	v_mov_b32_e32 v149, v145
	v_fma_f32 v147, v20, s3, -v138
	v_mov_b32_e32 v146, v145
	;; [unrolled: 26-line block ×3, first 2 shown]
	v_add_f32_e32 v4, v4, v135
	v_pk_add_f32 v[134:135], v[138:139], v[136:137]
	v_pk_add_f32 v[130:131], v[132:133], v[130:131] op_sel_hi:[1,0]
	v_mul_f32_e32 v110, 0x3ee1c552, v61
	v_pk_add_f32 v[132:133], v[134:135], v[130:131]
	ds_write_b32 v159, v129
	ds_write2_b32 v159, v132, v133 offset0:1 offset1:2
	v_pk_add_f32 v[128:129], v[4:5], v[126:127] neg_lo:[0,1] neg_hi:[0,1]
	v_pk_add_f32 v[126:127], v[4:5], v[126:127]
	ds_write2_b32 v159, v128, v126 offset0:3 offset1:4
	v_pk_add_f32 v[126:127], v[134:135], v[130:131] neg_lo:[0,1] neg_hi:[0,1]
	ds_write2_b32 v159, v127, v126 offset0:5 offset1:6
	v_add_f32_e32 v126, v14, v2
	v_add_f32_e32 v127, v47, v126
	v_pk_add_f32 v[128:129], v[114:115], v[126:127] neg_lo:[0,1] neg_hi:[0,1]
	v_pk_add_f32 v[114:115], v[114:115], v[126:127] op_sel_hi:[0,1]
	v_mov_b32_e32 v114, v128
	v_add_f32_e32 v107, v115, v6
	v_sub_f32_e32 v2, v126, v47
	v_pk_mul_f32 v[126:127], v[128:129], s[18:19]
	v_pk_fma_f32 v[128:129], v[114:115], s[18:19], v[106:107]
	v_pk_fma_f32 v[114:115], v[114:115], s[18:19], v[106:107] neg_lo:[1,0,0] neg_hi:[1,0,0]
	v_fma_f32 v4, v2, s12, -v126
	v_mov_b32_e32 v129, v115
	v_fma_f32 v127, v2, s3, -v106
	v_mov_b32_e32 v126, v115
	v_add_f32_e32 v180, v95, v85
	v_fmac_f32_e32 v96, 0x3ee1c552, v61
	v_mad_i32_i24 v93, v165, 28, 0
	v_add_f32_e32 v2, v4, v115
	v_pk_add_f32 v[114:115], v[128:129], v[126:127]
	v_pk_add_f32 v[110:111], v[112:113], v[110:111] op_sel_hi:[1,0]
	v_add_f32_e32 v181, v119, v180
	v_pk_add_f32 v[112:113], v[114:115], v[110:111]
	ds_write_b32 v93, v107
	ds_write2_b32 v93, v112, v113 offset0:1 offset1:2
	v_pk_add_f32 v[106:107], v[2:3], v[96:97] neg_lo:[0,1] neg_hi:[0,1]
	v_pk_add_f32 v[96:97], v[2:3], v[96:97]
	v_sub_f32_e32 v2, v180, v119
	v_pk_add_f32 v[182:183], v[120:121], v[180:181] neg_lo:[0,1] neg_hi:[0,1]
	v_pk_add_f32 v[180:181], v[120:121], v[180:181] op_sel_hi:[0,1]
	v_mov_b32_e32 v180, v182
	v_add_f32_e32 v119, v181, v81
	v_pk_mul_f32 v[80:81], v[182:183], s[18:19]
	v_pk_fma_f32 v[182:183], v[180:181], s[18:19], v[118:119]
	v_pk_fma_f32 v[180:181], v[180:181], s[18:19], v[118:119] neg_lo:[1,0,0] neg_hi:[1,0,0]
	s_movk_i32 s9, 0xffe8
	v_mov_b32_e32 v183, v181
	v_fma_f32 v4, v2, s12, -v80
	v_fma_f32 v81, v2, s3, -v118
	v_mov_b32_e32 v80, v181
	v_mad_i32_i24 v174, v161, s9, v41
	v_pk_add_f32 v[80:81], v[182:183], v[80:81]
	v_pk_add_f32 v[124:125], v[124:125], v[122:123] op_sel_hi:[1,0]
	v_add_f32_e32 v38, v63, v39
	v_fmac_f32_e32 v44, 0x3eae86e6, v89
	v_fma_f32 v45, v89, s1, -v45
	ds_write2_b32 v93, v106, v96 offset0:3 offset1:4
	v_pk_add_f32 v[96:97], v[114:115], v[110:111] neg_lo:[0,1] neg_hi:[0,1]
	v_add_u32_e32 v169, 0x400, v174
	v_add_u32_e32 v170, 0x800, v174
	;; [unrolled: 1-line block ×6, first 2 shown]
	v_mad_i32_i24 v179, v103, s9, v167
	v_add_u32_e32 v172, 0xa00, v174
	v_add_u32_e32 v160, 0x2000, v174
	v_mad_i32_i24 v178, v117, s9, v166
	v_add_u32_e32 v168, 0x1c00, v174
	v_mad_i32_i24 v177, v109, s9, v99
	v_add_u32_e32 v162, 0xc00, v174
	v_add_u32_e32 v163, 0x1600, v174
	v_mad_i32_i24 v176, v121, s9, v158
	v_mad_i32_i24 v175, v123, s9, v159
	v_add_u32_e32 v173, 0x2200, v174
	v_mad_i32_i24 v84, v165, s9, v93
	v_add_f32_e32 v2, v4, v181
	v_pk_add_f32 v[180:181], v[80:81], v[124:125] neg_lo:[0,1] neg_hi:[0,1]
	v_pk_add_f32 v[80:81], v[124:125], v[80:81]
	v_add_f32_e32 v39, v83, v38
	v_mul_f32_e32 v42, 0x3ee1c552, v59
	v_fmac_f32_e32 v40, 0x3ee1c552, v59
	ds_write2_b32 v93, v97, v96 offset0:5 offset1:6
	s_waitcnt lgkmcnt(0)
	; wave barrier
	s_waitcnt lgkmcnt(0)
	ds_read_b32 v69, v174
	ds_read_b32 v62, v179
	ds_read2_b32 v[156:157], v169 offset0:87 offset1:136
	ds_read2_b32 v[114:115], v170 offset0:125 offset1:174
	;; [unrolled: 1-line block ×9, first 2 shown]
	ds_read_b32 v59, v178
	ds_read2_b32 v[144:145], v169 offset0:185 offset1:234
	ds_read2_b32 v[142:143], v164 offset0:103 offset1:152
	ds_read2_b32 v[140:141], v168 offset0:21 offset1:70
	ds_read_b32 v57, v177
	ds_read2_b32 v[138:139], v162 offset0:65 offset1:114
	ds_read2_b32 v[136:137], v163 offset0:111 offset1:160
	ds_read2_b32 v[134:135], v160 offset0:157 offset1:206
	;; [unrolled: 4-line block ×4, first 2 shown]
	ds_read_b32 v47, v84
	s_waitcnt lgkmcnt(0)
	; wave barrier
	s_waitcnt lgkmcnt(0)
	ds_write_b32 v41, v119
	ds_write2_b32 v41, v180, v181 offset0:1 offset1:2
	v_pk_add_f32 v[118:119], v[2:3], v[116:117]
	v_pk_add_f32 v[180:181], v[2:3], v[116:117] neg_lo:[0,1] neg_hi:[0,1]
	v_mov_b32_e32 v43, v80
	ds_write2_b32 v41, v81, v80 offset0:5 offset1:6
	v_sub_f32_e32 v2, v38, v83
	v_pk_add_f32 v[80:81], v[108:109], v[38:39] neg_lo:[0,1] neg_hi:[0,1]
	v_pk_add_f32 v[38:39], v[108:109], v[38:39] op_sel_hi:[0,1]
	v_mov_b32_e32 v38, v80
	v_add_f32_e32 v101, v39, v37
	v_pk_mul_f32 v[36:37], v[80:81], s[18:19]
	v_pk_fma_f32 v[80:81], v[38:39], s[18:19], v[100:101]
	v_pk_fma_f32 v[38:39], v[38:39], s[18:19], v[100:101] neg_lo:[1,0,0] neg_hi:[1,0,0]
	v_fma_f32 v4, v2, s12, -v36
	v_mov_b32_e32 v81, v39
	v_fma_f32 v37, v2, s3, -v100
	v_mov_b32_e32 v36, v39
	v_add_f32_e32 v2, v4, v39
	v_pk_add_f32 v[36:37], v[80:81], v[36:37]
	v_pk_add_f32 v[38:39], v[104:105], v[102:103] op_sel_hi:[1,0]
	v_add_f32_e32 v32, v35, v33
	v_pk_add_f32 v[80:81], v[36:37], v[38:39] neg_lo:[0,1] neg_hi:[0,1]
	v_add_f32_e32 v33, v73, v32
	ds_write2_b32 v41, v118, v180 offset0:3 offset1:4
	ds_write_b32 v167, v101
	ds_write2_b32 v167, v80, v81 offset0:1 offset1:2
	v_pk_add_f32 v[80:81], v[2:3], v[98:99]
	v_pk_add_f32 v[100:101], v[2:3], v[98:99] neg_lo:[0,1] neg_hi:[0,1]
	v_sub_f32_e32 v2, v32, v73
	v_pk_add_f32 v[34:35], v[92:93], v[32:33] neg_lo:[0,1] neg_hi:[0,1]
	v_pk_add_f32 v[32:33], v[92:93], v[32:33] op_sel_hi:[0,1]
	v_mov_b32_e32 v32, v34
	v_add_f32_e32 v87, v33, v31
	v_pk_mul_f32 v[30:31], v[34:35], s[18:19]
	v_pk_fma_f32 v[34:35], v[32:33], s[18:19], v[86:87]
	v_pk_fma_f32 v[32:33], v[32:33], s[18:19], v[86:87] neg_lo:[1,0,0] neg_hi:[1,0,0]
	v_fma_f32 v4, v2, s12, -v30
	v_mov_b32_e32 v35, v33
	v_fma_f32 v31, v2, s3, -v86
	v_mov_b32_e32 v30, v33
	v_add_f32_e32 v2, v4, v33
	v_pk_add_f32 v[30:31], v[34:35], v[30:31]
	v_pk_add_f32 v[32:33], v[90:91], v[88:89] op_sel_hi:[1,0]
	v_add_f32_e32 v26, v29, v27
	v_pk_add_f32 v[36:37], v[38:39], v[36:37]
	v_pk_add_f32 v[34:35], v[30:31], v[32:33] neg_lo:[0,1] neg_hi:[0,1]
	v_add_f32_e32 v27, v71, v26
	ds_write2_b32 v167, v80, v100 offset0:3 offset1:4
	ds_write2_b32 v167, v37, v36 offset0:5 offset1:6
	ds_write_b32 v166, v87
	ds_write2_b32 v166, v34, v35 offset0:1 offset1:2
	v_pk_add_f32 v[34:35], v[2:3], v[82:83]
	v_pk_add_f32 v[36:37], v[2:3], v[82:83] neg_lo:[0,1] neg_hi:[0,1]
	v_sub_f32_e32 v2, v26, v71
	v_pk_add_f32 v[28:29], v[78:79], v[26:27] neg_lo:[0,1] neg_hi:[0,1]
	v_pk_add_f32 v[26:27], v[78:79], v[26:27] op_sel_hi:[0,1]
	v_mov_b32_e32 v26, v28
	v_add_f32_e32 v73, v27, v25
	v_pk_mul_f32 v[24:25], v[28:29], s[18:19]
	v_pk_fma_f32 v[28:29], v[26:27], s[18:19], v[72:73]
	v_pk_fma_f32 v[26:27], v[26:27], s[18:19], v[72:73] neg_lo:[1,0,0] neg_hi:[1,0,0]
	v_fma_f32 v4, v2, s12, -v24
	v_mov_b32_e32 v29, v27
	v_fma_f32 v25, v2, s3, -v72
	v_mov_b32_e32 v24, v27
	v_add_f32_e32 v2, v4, v27
	v_pk_add_f32 v[24:25], v[28:29], v[24:25]
	v_pk_add_f32 v[26:27], v[76:77], v[74:75] op_sel_hi:[1,0]
	v_add_f32_e32 v20, v23, v21
	v_pk_add_f32 v[30:31], v[32:33], v[30:31]
	v_pk_add_f32 v[28:29], v[24:25], v[26:27] neg_lo:[0,1] neg_hi:[0,1]
	v_add_f32_e32 v21, v65, v20
	ds_write2_b32 v166, v34, v36 offset0:3 offset1:4
	;; [unrolled: 25-line block ×3, first 2 shown]
	ds_write2_b32 v99, v25, v24 offset0:5 offset1:6
	ds_write_b32 v158, v61
	ds_write2_b32 v158, v22, v23 offset0:1 offset1:2
	v_pk_add_f32 v[22:23], v[2:3], v[58:59]
	v_pk_add_f32 v[24:25], v[2:3], v[58:59] neg_lo:[0,1] neg_hi:[0,1]
	v_sub_f32_e32 v2, v10, v49
	v_pk_add_f32 v[16:17], v[56:57], v[10:11] neg_lo:[0,1] neg_hi:[0,1]
	v_pk_add_f32 v[10:11], v[56:57], v[10:11] op_sel_hi:[0,1]
	v_mov_b32_e32 v10, v16
	v_add_f32_e32 v49, v11, v5
	v_pk_mul_f32 v[4:5], v[16:17], s[18:19]
	v_pk_fma_f32 v[16:17], v[10:11], s[18:19], v[48:49]
	v_pk_fma_f32 v[10:11], v[10:11], s[18:19], v[48:49] neg_lo:[1,0,0] neg_hi:[1,0,0]
	v_fma_f32 v4, v2, s12, -v4
	v_mov_b32_e32 v17, v11
	v_fma_f32 v5, v2, s3, -v48
	v_add_f32_e32 v2, v4, v11
	v_mov_b32_e32 v4, v11
	v_pk_add_f32 v[4:5], v[16:17], v[4:5]
	v_pk_add_f32 v[10:11], v[54:55], v[52:53] op_sel_hi:[1,0]
	v_pk_add_f32 v[18:19], v[20:21], v[18:19]
	v_pk_add_f32 v[16:17], v[4:5], v[10:11] neg_lo:[0,1] neg_hi:[0,1]
	ds_write2_b32 v158, v22, v24 offset0:3 offset1:4
	ds_write2_b32 v158, v19, v18 offset0:5 offset1:6
	ds_write_b32 v159, v49
	ds_write2_b32 v159, v16, v17 offset0:1 offset1:2
	v_pk_add_f32 v[16:17], v[2:3], v[50:51]
	v_pk_add_f32 v[18:19], v[2:3], v[50:51] neg_lo:[0,1] neg_hi:[0,1]
	v_add_f32_e32 v2, v15, v3
	v_pk_add_f32 v[4:5], v[10:11], v[4:5]
	v_add_f32_e32 v3, v1, v2
	ds_write2_b32 v159, v5, v4 offset0:5 offset1:6
	v_sub_f32_e32 v10, v2, v1
	v_pk_add_f32 v[4:5], v[46:47], v[2:3] neg_lo:[0,1] neg_hi:[0,1]
	v_pk_add_f32 v[2:3], v[46:47], v[2:3] op_sel_hi:[0,1]
	v_mov_b32_e32 v2, v4
	v_add_f32_e32 v1, v3, v7
	v_pk_mul_f32 v[4:5], v[4:5], s[18:19]
	v_pk_fma_f32 v[6:7], v[2:3], s[18:19], v[0:1]
	v_pk_fma_f32 v[2:3], v[2:3], s[18:19], v[0:1] neg_lo:[1,0,0] neg_hi:[1,0,0]
	v_fma_f32 v5, v10, s3, -v0
	v_mov_b32_e32 v7, v3
	v_fma_f32 v2, v10, s12, -v4
	v_mov_b32_e32 v4, v3
	v_mov_b32_e32 v86, 37
	v_add_f32_e32 v0, v2, v3
	v_pk_add_f32 v[2:3], v[6:7], v[4:5]
	v_pk_add_f32 v[4:5], v[44:45], v[42:43] op_sel_hi:[1,0]
	v_mul_lo_u16_sdwa v44, v161, v86 dst_sel:DWORD dst_unused:UNUSED_PAD src0_sel:BYTE_0 src1_sel:DWORD
	v_sub_u16_sdwa v45, v161, v44 dst_sel:DWORD dst_unused:UNUSED_PAD src0_sel:DWORD src1_sel:BYTE_1
	v_lshrrev_b16_e32 v45, 1, v45
	v_and_b32_e32 v45, 0x7f, v45
	v_add_u16_sdwa v44, v45, v44 dst_sel:DWORD dst_unused:UNUSED_PAD src0_sel:DWORD src1_sel:BYTE_1
	v_lshrrev_b16_e32 v44, 2, v44
	v_mul_lo_u16_e32 v45, 7, v44
	v_mov_b32_e32 v41, v100
	v_pk_add_f32 v[6:7], v[2:3], v[4:5] neg_lo:[0,1] neg_hi:[0,1]
	v_sub_u16_e32 v45, v161, v45
	v_mov_b32_e32 v91, 6
	ds_write2_b32 v159, v16, v18 offset0:3 offset1:4
	ds_write_b32 v93, v1
	ds_write2_b32 v93, v6, v7 offset0:1 offset1:2
	v_pk_add_f32 v[6:7], v[0:1], v[40:41]
	v_pk_add_f32 v[0:1], v[0:1], v[40:41] neg_lo:[0,1] neg_hi:[0,1]
	v_mul_u32_u24_sdwa v56, v45, v91 dst_sel:DWORD dst_unused:UNUSED_PAD src0_sel:BYTE_0 src1_sel:DWORD
	ds_write2_b32 v93, v6, v0 offset0:3 offset1:4
	v_pk_add_f32 v[0:1], v[4:5], v[2:3]
	v_lshlrev_b32_e32 v56, 3, v56
	ds_write2_b32 v93, v1, v0 offset0:5 offset1:6
	s_waitcnt lgkmcnt(0)
	; wave barrier
	s_waitcnt lgkmcnt(0)
	ds_read_b32 v50, v174
	ds_read2_b32 v[60:61], v169 offset0:87 offset1:136
	ds_read2_b32 v[16:17], v170 offset0:125 offset1:174
	;; [unrolled: 1-line block ×6, first 2 shown]
	ds_read_b32 v54, v179
	ds_read2_b32 v[38:39], v172 offset0:95 offset1:144
	ds_read2_b32 v[36:37], v171 offset0:141 offset1:190
	ds_read2_b32 v[34:35], v160 offset0:59 offset1:108
	ds_read_b32 v55, v178
	ds_read2_b32 v[32:33], v169 offset0:185 offset1:234
	ds_read2_b32 v[30:31], v164 offset0:103 offset1:152
	ds_read2_b32 v[28:29], v168 offset0:21 offset1:70
	;; [unrolled: 4-line block ×5, first 2 shown]
	ds_read_b32 v46, v84
	global_load_dwordx4 v[76:79], v56, s[4:5] offset:32
	global_load_dwordx4 v[80:83], v56, s[4:5] offset:16
	global_load_dwordx4 v[64:67], v56, s[4:5]
	s_movk_i32 s9, 0x2493
	v_mul_u32_u24_e32 v44, 0xc4, v44
	s_mov_b32 s6, 0x3eae86e6
	s_mov_b32 s8, 0x3f4a47b2
	;; [unrolled: 1-line block ×4, first 2 shown]
	s_waitcnt vmcnt(2)
	v_mul_f32_e32 v75, v152, v77
	s_waitcnt lgkmcnt(14)
	v_fmac_f32_e32 v75, v40, v76
	s_waitcnt vmcnt(0)
	v_mul_f32_e32 v56, v60, v65
	v_mul_f32_e32 v70, v115, v67
	v_fma_f32 v72, v156, v64, -v56
	v_mul_f32_e32 v56, v17, v67
	v_fmac_f32_e32 v70, v17, v66
	v_mul_f32_e32 v17, v42, v81
	v_mul_f32_e32 v67, v111, v83
	v_fma_f32 v63, v154, v80, -v17
	v_mul_f32_e32 v17, v11, v83
	v_fmac_f32_e32 v67, v11, v82
	;; [unrolled: 5-line block ×3, first 2 shown]
	v_mul_lo_u16_sdwa v5, v103, v86 dst_sel:DWORD dst_unused:UNUSED_PAD src0_sel:BYTE_0 src1_sel:DWORD
	v_fma_f32 v76, v97, v78, -v11
	v_sub_u16_sdwa v11, v103, v5 dst_sel:DWORD dst_unused:UNUSED_PAD src0_sel:DWORD src1_sel:BYTE_1
	v_lshrrev_b16_e32 v11, 1, v11
	v_and_b32_e32 v11, 0x7f, v11
	v_add_u16_sdwa v5, v11, v5 dst_sel:DWORD dst_unused:UNUSED_PAD src0_sel:DWORD src1_sel:BYTE_1
	v_lshrrev_b16_e32 v5, 2, v5
	v_mul_lo_u16_e32 v11, 7, v5
	v_sub_u16_e32 v11, v103, v11
	v_mul_f32_e32 v73, v156, v65
	v_fma_f32 v68, v115, v66, -v56
	v_fma_f32 v66, v111, v82, -v17
	v_mul_u32_u24_sdwa v17, v11, v91 dst_sel:DWORD dst_unused:UNUSED_PAD src0_sel:BYTE_0 src1_sel:DWORD
	v_fmac_f32_e32 v73, v60, v64
	v_mul_f32_e32 v64, v154, v81
	v_lshlrev_b32_e32 v17, 3, v17
	v_fmac_f32_e32 v64, v42, v80
	global_load_dwordx4 v[78:81], v17, s[4:5] offset:32
	global_load_dwordx4 v[180:183], v17, s[4:5] offset:16
	global_load_dwordx4 v[184:187], v17, s[4:5]
	v_mul_u32_u24_e32 v5, 0xc4, v5
	s_waitcnt vmcnt(2)
	v_mul_f32_e32 v65, v153, v79
	s_waitcnt vmcnt(1)
	v_mul_f32_e32 v60, v155, v181
	s_waitcnt vmcnt(0)
	v_mul_f32_e32 v17, v61, v185
	v_fma_f32 v40, v157, v184, -v17
	v_mul_f32_e32 v17, v38, v187
	v_fma_f32 v56, v150, v186, -v17
	v_mul_f32_e32 v58, v150, v187
	v_mul_f32_e32 v17, v43, v181
	;; [unrolled: 1-line block ×3, first 2 shown]
	v_fmac_f32_e32 v58, v38, v186
	v_fma_f32 v38, v155, v180, -v17
	v_mul_f32_e32 v17, v36, v183
	v_fmac_f32_e32 v42, v61, v184
	v_fmac_f32_e32 v60, v43, v180
	v_fma_f32 v43, v148, v182, -v17
	v_mul_f32_e32 v61, v148, v183
	v_mul_f32_e32 v17, v41, v79
	v_fmac_f32_e32 v61, v36, v182
	v_fma_f32 v36, v153, v78, -v17
	v_mul_f32_e32 v17, v34, v81
	v_fmac_f32_e32 v65, v41, v78
	v_fma_f32 v41, v146, v80, -v17
	v_mul_f32_e32 v71, v146, v81
	v_mul_lo_u16_sdwa v17, v117, v86 dst_sel:DWORD dst_unused:UNUSED_PAD src0_sel:BYTE_0 src1_sel:DWORD
	v_fmac_f32_e32 v71, v34, v80
	v_sub_u16_sdwa v34, v117, v17 dst_sel:DWORD dst_unused:UNUSED_PAD src0_sel:DWORD src1_sel:BYTE_1
	v_lshrrev_b16_e32 v34, 1, v34
	v_and_b32_e32 v34, 0x7f, v34
	v_add_u16_sdwa v17, v34, v17 dst_sel:DWORD dst_unused:UNUSED_PAD src0_sel:DWORD src1_sel:BYTE_1
	v_lshrrev_b16_e32 v17, 2, v17
	v_mul_lo_u16_e32 v34, 7, v17
	v_sub_u16_e32 v34, v117, v34
	v_mul_u32_u24_sdwa v78, v34, v91 dst_sel:DWORD dst_unused:UNUSED_PAD src0_sel:BYTE_0 src1_sel:DWORD
	v_lshlrev_b32_e32 v78, 3, v78
	global_load_dwordx4 v[152:155], v78, s[4:5] offset:32
	global_load_dwordx4 v[180:183], v78, s[4:5] offset:16
	global_load_dwordx4 v[80:83], v78, s[4:5]
	s_waitcnt vmcnt(2)
	v_mul_f32_e32 v85, v140, v153
	s_waitcnt lgkmcnt(13)
	v_fmac_f32_e32 v85, v28, v152
	s_waitcnt vmcnt(0)
	v_mul_f32_e32 v78, v32, v81
	v_mul_f32_e32 v79, v144, v81
	v_fma_f32 v78, v144, v80, -v78
	v_fmac_f32_e32 v79, v32, v80
	v_mul_f32_e32 v80, v151, v83
	v_mul_f32_e32 v81, v142, v181
	;; [unrolled: 1-line block ×3, first 2 shown]
	v_fmac_f32_e32 v80, v39, v82
	v_mul_f32_e32 v39, v30, v181
	v_fmac_f32_e32 v81, v30, v180
	v_mul_f32_e32 v30, v37, v183
	v_fma_f32 v32, v151, v82, -v32
	v_fma_f32 v82, v149, v182, -v30
	v_mul_f32_e32 v30, v28, v153
	v_mul_f32_e32 v28, v35, v155
	;; [unrolled: 1-line block ×3, first 2 shown]
	v_fma_f32 v87, v147, v154, -v28
	v_mul_lo_u16_sdwa v28, v109, v86 dst_sel:DWORD dst_unused:UNUSED_PAD src0_sel:BYTE_0 src1_sel:DWORD
	v_fmac_f32_e32 v83, v37, v182
	v_fma_f32 v37, v140, v152, -v30
	v_sub_u16_sdwa v30, v109, v28 dst_sel:DWORD dst_unused:UNUSED_PAD src0_sel:DWORD src1_sel:BYTE_1
	v_lshrrev_b16_e32 v30, 1, v30
	v_and_b32_e32 v30, 0x7f, v30
	v_add_u16_sdwa v28, v30, v28 dst_sel:DWORD dst_unused:UNUSED_PAD src0_sel:DWORD src1_sel:BYTE_1
	v_lshrrev_b16_e32 v28, 2, v28
	v_mul_lo_u16_e32 v30, 7, v28
	v_mul_f32_e32 v88, v147, v155
	v_sub_u16_e32 v30, v109, v30
	v_fmac_f32_e32 v88, v35, v154
	v_mul_u32_u24_sdwa v35, v30, v91 dst_sel:DWORD dst_unused:UNUSED_PAD src0_sel:BYTE_0 src1_sel:DWORD
	v_lshlrev_b32_e32 v35, 3, v35
	global_load_dwordx4 v[146:149], v35, s[4:5] offset:32
	global_load_dwordx4 v[150:153], v35, s[4:5] offset:16
	global_load_dwordx4 v[154:157], v35, s[4:5]
	v_fma_f32 v39, v142, v180, -v39
	s_waitcnt vmcnt(1)
	v_mul_f32_e32 v140, v143, v151
	s_waitcnt vmcnt(0)
	v_mul_f32_e32 v90, v145, v155
	v_mul_f32_e32 v116, v138, v157
	;; [unrolled: 1-line block ×3, first 2 shown]
	v_fmac_f32_e32 v90, v33, v154
	s_waitcnt lgkmcnt(11)
	v_mul_f32_e32 v33, v26, v157
	v_fmac_f32_e32 v116, v26, v156
	v_mul_f32_e32 v26, v31, v151
	v_fma_f32 v33, v138, v156, -v33
	v_fma_f32 v138, v143, v150, -v26
	s_waitcnt lgkmcnt(10)
	v_mul_f32_e32 v26, v24, v153
	v_fmac_f32_e32 v140, v31, v150
	v_fma_f32 v31, v136, v152, -v26
	v_mul_f32_e32 v136, v136, v153
	v_fmac_f32_e32 v136, v24, v152
	v_mul_f32_e32 v24, v29, v147
	v_fma_f32 v142, v141, v146, -v24
	v_mul_f32_e32 v141, v141, v147
	s_waitcnt lgkmcnt(9)
	v_mul_f32_e32 v24, v22, v149
	v_fmac_f32_e32 v141, v29, v146
	v_fma_f32 v29, v134, v148, -v24
	v_mul_f32_e32 v134, v134, v149
	v_fmac_f32_e32 v134, v22, v148
	v_mul_lo_u16_sdwa v22, v121, v86 dst_sel:DWORD dst_unused:UNUSED_PAD src0_sel:BYTE_0 src1_sel:DWORD
	v_sub_u16_sdwa v24, v121, v22 dst_sel:DWORD dst_unused:UNUSED_PAD src0_sel:DWORD src1_sel:BYTE_1
	v_lshrrev_b16_e32 v24, 1, v24
	v_and_b32_e32 v24, 0x7f, v24
	v_add_u16_sdwa v22, v24, v22 dst_sel:DWORD dst_unused:UNUSED_PAD src0_sel:DWORD src1_sel:BYTE_1
	v_lshrrev_b16_e32 v24, 2, v22
	v_mul_lo_u16_e32 v22, 7, v24
	v_sub_u16_e32 v22, v121, v22
	v_mul_u32_u24_sdwa v26, v22, v91 dst_sel:DWORD dst_unused:UNUSED_PAD src0_sel:BYTE_0 src1_sel:DWORD
	v_lshlrev_b32_e32 v26, 3, v26
	v_fma_f32 v35, v145, v154, -v35
	global_load_dwordx4 v[148:151], v26, s[4:5] offset:32
	global_load_dwordx4 v[152:155], v26, s[4:5] offset:16
	global_load_dwordx4 v[144:147], v26, s[4:5]
	s_waitcnt vmcnt(0) lgkmcnt(7)
	v_mul_f32_e32 v26, v20, v145
	v_fma_f32 v143, v132, v144, -v26
	v_mul_f32_e32 v132, v132, v145
	v_fmac_f32_e32 v132, v20, v144
	v_mul_f32_e32 v20, v27, v147
	v_fma_f32 v144, v139, v146, -v20
	s_waitcnt lgkmcnt(6)
	v_mul_f32_e32 v20, v2, v153
	v_fma_f32 v145, v130, v152, -v20
	v_mul_f32_e32 v130, v130, v153
	v_mul_f32_e32 v139, v139, v147
	v_fmac_f32_e32 v130, v2, v152
	v_mul_f32_e32 v2, v25, v155
	v_fmac_f32_e32 v139, v27, v146
	v_fma_f32 v146, v137, v154, -v2
	v_mul_f32_e32 v137, v137, v155
	s_waitcnt lgkmcnt(5)
	v_mul_f32_e32 v2, v0, v149
	v_fmac_f32_e32 v137, v25, v154
	v_fma_f32 v25, v128, v148, -v2
	v_mul_f32_e32 v128, v128, v149
	v_fmac_f32_e32 v128, v0, v148
	v_mul_f32_e32 v0, v23, v151
	v_fma_f32 v147, v135, v150, -v0
	v_mul_u32_u24_sdwa v0, v123, s9 dst_sel:DWORD dst_unused:UNUSED_PAD src0_sel:WORD_0 src1_sel:DWORD
	v_sub_u16_sdwa v2, v123, v0 dst_sel:DWORD dst_unused:UNUSED_PAD src0_sel:DWORD src1_sel:WORD_1
	v_lshrrev_b16_e32 v2, 1, v2
	v_add_u16_sdwa v0, v2, v0 dst_sel:DWORD dst_unused:UNUSED_PAD src0_sel:DWORD src1_sel:WORD_1
	v_lshrrev_b16_e32 v20, 2, v0
	v_mul_f32_e32 v135, v135, v151
	v_mul_lo_u16_e32 v0, 7, v20
	v_fmac_f32_e32 v135, v23, v150
	v_sub_u16_e32 v23, v123, v0
	v_mul_u32_u24_e32 v0, 6, v23
	v_lshlrev_b32_e32 v0, 3, v0
	global_load_dwordx4 v[154:157], v0, s[4:5] offset:32
	global_load_dwordx4 v[180:183], v0, s[4:5] offset:16
	global_load_dwordx4 v[150:153], v0, s[4:5]
	v_add_f32_e32 v26, v63, v66
	v_add_f32_e32 v27, v64, v67
	v_sub_f32_e32 v63, v66, v63
	v_sub_f32_e32 v64, v67, v64
	s_waitcnt vmcnt(0)
	v_mul_f32_e32 v0, v21, v151
	v_fma_f32 v148, v133, v150, -v0
	v_mul_f32_e32 v133, v133, v151
	s_waitcnt lgkmcnt(3)
	v_mul_f32_e32 v0, v18, v153
	v_fmac_f32_e32 v133, v21, v150
	v_fma_f32 v21, v126, v152, -v0
	v_mul_f32_e32 v0, v3, v181
	v_fma_f32 v150, v131, v180, -v0
	s_waitcnt lgkmcnt(2)
	v_mul_f32_e32 v0, v14, v183
	v_fma_f32 v151, v112, v182, -v0
	v_mul_f32_e32 v0, v1, v155
	v_mul_f32_e32 v149, v126, v153
	v_fma_f32 v153, v129, v154, -v0
	v_mul_f32_e32 v129, v129, v155
	s_waitcnt lgkmcnt(1)
	v_mul_f32_e32 v0, v6, v157
	v_fmac_f32_e32 v129, v1, v154
	v_fma_f32 v154, v106, v156, -v0
	v_mul_u32_u24_sdwa v0, v165, s9 dst_sel:DWORD dst_unused:UNUSED_PAD src0_sel:WORD_0 src1_sel:DWORD
	v_sub_u16_sdwa v1, v165, v0 dst_sel:DWORD dst_unused:UNUSED_PAD src0_sel:DWORD src1_sel:WORD_1
	v_lshrrev_b16_e32 v1, 1, v1
	v_mul_f32_e32 v155, v106, v157
	v_add_u16_sdwa v0, v1, v0 dst_sel:DWORD dst_unused:UNUSED_PAD src0_sel:DWORD src1_sel:WORD_1
	v_fmac_f32_e32 v155, v6, v156
	v_lshrrev_b16_e32 v6, 2, v0
	v_mul_lo_u16_e32 v0, 7, v6
	v_fmac_f32_e32 v149, v18, v152
	v_sub_u16_e32 v18, v165, v0
	v_mul_f32_e32 v152, v112, v183
	v_mul_u32_u24_e32 v0, 6, v18
	v_mul_f32_e32 v131, v131, v181
	v_fmac_f32_e32 v152, v14, v182
	v_lshlrev_b32_e32 v14, 3, v0
	v_fmac_f32_e32 v131, v3, v180
	global_load_dwordx4 v[0:3], v14, s[4:5] offset:32
	global_load_dwordx4 v[182:185], v14, s[4:5] offset:16
	global_load_dwordx4 v[186:189], v14, s[4:5]
	s_waitcnt lgkmcnt(0)
	; wave barrier
	s_waitcnt lgkmcnt(0)
	s_movk_i32 s9, 0x4f
	s_waitcnt vmcnt(1)
	v_mul_f32_e32 v181, v110, v183
	s_waitcnt vmcnt(0)
	v_mul_f32_e32 v14, v16, v187
	v_fma_f32 v156, v114, v186, -v14
	v_mul_f32_e32 v157, v114, v187
	v_mul_f32_e32 v14, v19, v189
	v_fmac_f32_e32 v157, v16, v186
	v_fma_f32 v16, v127, v188, -v14
	v_mul_f32_e32 v14, v10, v183
	v_fmac_f32_e32 v181, v10, v182
	v_mul_f32_e32 v10, v15, v185
	v_fma_f32 v180, v110, v182, -v14
	v_fma_f32 v182, v113, v184, -v10
	v_mul_f32_e32 v183, v113, v185
	v_mul_f32_e32 v10, v4, v1
	;; [unrolled: 1-line block ×3, first 2 shown]
	v_fmac_f32_e32 v183, v15, v184
	v_fma_f32 v184, v96, v0, -v10
	v_fmac_f32_e32 v185, v4, v0
	v_mul_f32_e32 v0, v7, v3
	v_mul_f32_e32 v3, v107, v3
	;; [unrolled: 1-line block ×3, first 2 shown]
	v_fma_f32 v0, v107, v2, -v0
	v_fmac_f32_e32 v3, v7, v2
	v_add_f32_e32 v1, v72, v76
	v_add_f32_e32 v2, v73, v77
	;; [unrolled: 1-line block ×4, first 2 shown]
	v_fmac_f32_e32 v127, v19, v188
	v_sub_f32_e32 v4, v72, v76
	v_sub_f32_e32 v15, v68, v74
	v_sub_f32_e32 v19, v70, v75
	v_add_f32_e32 v66, v10, v1
	v_add_f32_e32 v67, v14, v2
	v_sub_f32_e32 v7, v73, v77
	v_sub_f32_e32 v68, v10, v1
	;; [unrolled: 1-line block ×7, first 2 shown]
	v_add_f32_e32 v72, v63, v15
	v_sub_f32_e32 v74, v63, v15
	v_sub_f32_e32 v75, v64, v19
	;; [unrolled: 1-line block ×3, first 2 shown]
	v_add_f32_e32 v26, v26, v66
	v_add_f32_e32 v27, v27, v67
	;; [unrolled: 1-line block ×3, first 2 shown]
	v_sub_f32_e32 v63, v4, v63
	v_sub_f32_e32 v64, v7, v64
	;; [unrolled: 1-line block ×3, first 2 shown]
	v_add_f32_e32 v4, v72, v4
	v_add_f32_e32 v86, v69, v26
	;; [unrolled: 1-line block ×3, first 2 shown]
	v_mul_f32_e32 v1, 0x3f4a47b2, v1
	v_mul_f32_e32 v2, 0x3f4a47b2, v2
	;; [unrolled: 1-line block ×7, first 2 shown]
	v_add_f32_e32 v7, v73, v7
	v_mul_f32_e32 v73, 0x3f5ff5aa, v19
	v_fmamk_f32 v26, v26, 0xbf955555, v86
	v_fmamk_f32 v27, v27, 0xbf955555, v92
	v_fma_f32 v50, v68, s12, -v50
	v_fma_f32 v66, v70, s12, -v66
	;; [unrolled: 1-line block ×3, first 2 shown]
	v_fmac_f32_e32 v1, 0x3d64c772, v10
	v_fma_f32 v10, v70, s3, -v2
	v_fmac_f32_e32 v2, 0x3d64c772, v14
	v_fma_f32 v14, v15, s2, -v67
	;; [unrolled: 2-line block ×4, first 2 shown]
	v_fma_f32 v63, v64, s1, -v73
	v_add_f32_e32 v1, v1, v26
	v_add_f32_e32 v2, v2, v27
	;; [unrolled: 1-line block ×5, first 2 shown]
	v_fmac_f32_e32 v67, 0x3ee1c552, v4
	v_fmac_f32_e32 v69, 0x3ee1c552, v7
	;; [unrolled: 1-line block ×5, first 2 shown]
	v_add_f32_e32 v26, v68, v26
	v_fmac_f32_e32 v63, 0x3ee1c552, v7
	v_add_f32_e32 v126, v69, v1
	v_sub_f32_e32 v108, v2, v67
	v_sub_f32_e32 v102, v10, v19
	;; [unrolled: 1-line block ×3, first 2 shown]
	v_add_f32_e32 v106, v14, v64
	v_add_f32_e32 v118, v15, v50
	v_sub_f32_e32 v101, v64, v14
	v_add_f32_e32 v105, v19, v10
	v_sub_f32_e32 v50, v1, v69
	v_add_f32_e32 v104, v67, v2
	v_add_f32_e32 v1, v40, v41
	;; [unrolled: 1-line block ×6, first 2 shown]
	v_sub_f32_e32 v120, v26, v63
	v_sub_f32_e32 v4, v40, v41
	;; [unrolled: 1-line block ×4, first 2 shown]
	v_add_f32_e32 v26, v38, v43
	v_add_f32_e32 v27, v60, v61
	v_sub_f32_e32 v36, v43, v38
	v_sub_f32_e32 v38, v61, v60
	v_add_f32_e32 v40, v10, v1
	v_add_f32_e32 v41, v14, v2
	v_sub_f32_e32 v7, v42, v71
	v_sub_f32_e32 v42, v10, v1
	;; [unrolled: 1-line block ×7, first 2 shown]
	v_add_f32_e32 v56, v36, v15
	v_add_f32_e32 v58, v38, v19
	v_sub_f32_e32 v60, v36, v15
	v_sub_f32_e32 v61, v38, v19
	;; [unrolled: 1-line block ×3, first 2 shown]
	v_add_f32_e32 v26, v26, v40
	v_add_f32_e32 v27, v27, v41
	v_sub_f32_e32 v36, v4, v36
	v_sub_f32_e32 v38, v7, v38
	;; [unrolled: 1-line block ×3, first 2 shown]
	v_add_f32_e32 v4, v56, v4
	v_add_f32_e32 v7, v58, v7
	;; [unrolled: 1-line block ×4, first 2 shown]
	v_mul_f32_e32 v1, 0x3f4a47b2, v1
	v_mul_f32_e32 v2, 0x3f4a47b2, v2
	;; [unrolled: 1-line block ×8, first 2 shown]
	v_fmamk_f32 v26, v26, 0xbf955555, v56
	v_fmamk_f32 v27, v27, 0xbf955555, v91
	v_fma_f32 v40, v42, s12, -v40
	v_fma_f32 v41, v43, s12, -v41
	;; [unrolled: 1-line block ×3, first 2 shown]
	v_fmac_f32_e32 v1, 0x3d64c772, v10
	v_fma_f32 v10, v43, s3, -v2
	v_fmac_f32_e32 v2, 0x3d64c772, v14
	v_fma_f32 v14, v15, s2, -v54
	v_fmac_f32_e32 v54, 0x3eae86e6, v36
	v_fma_f32 v15, v19, s2, -v58
	v_fmac_f32_e32 v58, 0x3eae86e6, v38
	v_fma_f32 v19, v36, s1, -v60
	v_fma_f32 v36, v38, s1, -v61
	v_add_f32_e32 v1, v1, v26
	v_add_f32_e32 v2, v2, v27
	;; [unrolled: 1-line block ×5, first 2 shown]
	v_fmac_f32_e32 v54, 0x3ee1c552, v4
	v_fmac_f32_e32 v58, 0x3ee1c552, v7
	;; [unrolled: 1-line block ×4, first 2 shown]
	v_add_f32_e32 v26, v42, v26
	v_fmac_f32_e32 v15, 0x3ee1c552, v7
	v_fmac_f32_e32 v36, 0x3ee1c552, v7
	v_add_f32_e32 v125, v58, v1
	v_sub_f32_e32 v107, v2, v54
	v_sub_f32_e32 v97, v10, v19
	v_add_f32_e32 v100, v14, v40
	v_sub_f32_e32 v96, v40, v14
	v_add_f32_e32 v98, v19, v10
	;; [unrolled: 2-line block ×3, first 2 shown]
	v_add_f32_e32 v1, v78, v87
	v_add_f32_e32 v2, v79, v88
	;; [unrolled: 1-line block ×5, first 2 shown]
	v_sub_f32_e32 v115, v38, v15
	v_add_f32_e32 v112, v15, v38
	v_sub_f32_e32 v114, v26, v36
	v_sub_f32_e32 v4, v78, v87
	;; [unrolled: 1-line block ×5, first 2 shown]
	v_add_f32_e32 v26, v39, v82
	v_add_f32_e32 v27, v81, v83
	v_sub_f32_e32 v32, v82, v39
	v_sub_f32_e32 v36, v83, v81
	v_add_f32_e32 v37, v10, v1
	v_add_f32_e32 v38, v14, v2
	v_sub_f32_e32 v39, v10, v1
	v_sub_f32_e32 v41, v14, v2
	;; [unrolled: 1-line block ×6, first 2 shown]
	v_add_f32_e32 v42, v32, v15
	v_add_f32_e32 v43, v36, v19
	v_sub_f32_e32 v58, v32, v15
	v_sub_f32_e32 v62, v36, v19
	;; [unrolled: 1-line block ×4, first 2 shown]
	v_add_f32_e32 v26, v26, v37
	v_add_f32_e32 v27, v27, v38
	v_sub_f32_e32 v32, v4, v32
	v_sub_f32_e32 v36, v7, v36
	v_add_f32_e32 v4, v42, v4
	v_add_f32_e32 v7, v43, v7
	;; [unrolled: 1-line block ×4, first 2 shown]
	v_mul_f32_e32 v1, 0x3f4a47b2, v1
	v_mul_f32_e32 v2, 0x3f4a47b2, v2
	;; [unrolled: 1-line block ×8, first 2 shown]
	v_fmamk_f32 v26, v26, 0xbf955555, v54
	v_fmamk_f32 v27, v27, 0xbf955555, v61
	v_fma_f32 v37, v39, s12, -v37
	v_fma_f32 v39, v39, s3, -v1
	v_fmac_f32_e32 v1, 0x3d64c772, v10
	v_fma_f32 v10, v41, s3, -v2
	v_fmac_f32_e32 v2, 0x3d64c772, v14
	v_fma_f32 v14, v15, s2, -v42
	v_fmac_f32_e32 v42, 0x3eae86e6, v32
	v_fma_f32 v15, v19, s2, -v43
	v_fmac_f32_e32 v43, 0x3eae86e6, v36
	v_fma_f32 v19, v32, s1, -v55
	v_fma_f32 v32, v36, s1, -v58
	;; [unrolled: 1-line block ×3, first 2 shown]
	v_add_f32_e32 v1, v1, v26
	v_add_f32_e32 v2, v2, v27
	;; [unrolled: 1-line block ×5, first 2 shown]
	v_fmac_f32_e32 v42, 0x3ee1c552, v4
	v_fmac_f32_e32 v43, 0x3ee1c552, v7
	;; [unrolled: 1-line block ×5, first 2 shown]
	v_add_f32_e32 v37, v38, v27
	v_fmac_f32_e32 v14, 0x3ee1c552, v4
	v_add_f32_e32 v124, v43, v1
	v_sub_f32_e32 v70, v2, v42
	v_add_f32_e32 v88, v32, v26
	v_sub_f32_e32 v68, v10, v19
	v_sub_f32_e32 v111, v36, v15
	v_add_f32_e32 v87, v15, v36
	v_sub_f32_e32 v95, v26, v32
	v_add_f32_e32 v15, v19, v10
	;; [unrolled: 2-line block ×3, first 2 shown]
	v_add_f32_e32 v1, v35, v29
	v_add_f32_e32 v2, v90, v134
	v_add_f32_e32 v10, v33, v142
	v_add_f32_e32 v27, v116, v141
	v_add_f32_e32 v69, v14, v37
	v_sub_f32_e32 v14, v37, v14
	v_sub_f32_e32 v4, v35, v29
	;; [unrolled: 1-line block ×5, first 2 shown]
	v_add_f32_e32 v33, v138, v31
	v_add_f32_e32 v35, v140, v136
	v_sub_f32_e32 v31, v31, v138
	v_sub_f32_e32 v36, v136, v140
	v_add_f32_e32 v37, v10, v1
	v_add_f32_e32 v38, v27, v2
	v_sub_f32_e32 v39, v10, v1
	v_sub_f32_e32 v41, v27, v2
	;; [unrolled: 1-line block ×6, first 2 shown]
	v_add_f32_e32 v27, v31, v29
	v_add_f32_e32 v42, v36, v32
	v_sub_f32_e32 v55, v31, v29
	v_sub_f32_e32 v58, v36, v32
	;; [unrolled: 1-line block ×3, first 2 shown]
	v_add_f32_e32 v33, v33, v37
	v_add_f32_e32 v35, v35, v38
	v_sub_f32_e32 v31, v4, v31
	v_sub_f32_e32 v36, v7, v36
	;; [unrolled: 1-line block ×3, first 2 shown]
	v_add_f32_e32 v4, v27, v4
	v_add_f32_e32 v7, v42, v7
	;; [unrolled: 1-line block ×4, first 2 shown]
	v_mul_f32_e32 v1, 0x3f4a47b2, v1
	v_mul_f32_e32 v2, 0x3f4a47b2, v2
	;; [unrolled: 1-line block ×8, first 2 shown]
	v_fmamk_f32 v33, v33, 0xbf955555, v42
	v_fmamk_f32 v35, v35, 0xbf955555, v27
	v_fma_f32 v37, v39, s12, -v37
	v_fma_f32 v38, v41, s12, -v38
	;; [unrolled: 1-line block ×3, first 2 shown]
	v_fmac_f32_e32 v1, 0x3d64c772, v10
	v_fma_f32 v10, v41, s3, -v2
	v_fmac_f32_e32 v2, 0x3d64c772, v43
	v_fma_f32 v41, v29, s2, -v52
	;; [unrolled: 2-line block ×4, first 2 shown]
	v_fma_f32 v62, v31, s1, -v57
	v_add_f32_e32 v1, v1, v33
	v_add_f32_e32 v2, v2, v35
	;; [unrolled: 1-line block ×5, first 2 shown]
	v_fmac_f32_e32 v52, 0x3ee1c552, v4
	v_fmac_f32_e32 v55, 0x3ee1c552, v7
	;; [unrolled: 1-line block ×5, first 2 shown]
	v_add_f32_e32 v10, v10, v35
	v_fmac_f32_e32 v62, 0x3ee1c552, v4
	v_add_f32_e32 v116, v55, v1
	v_sub_f32_e32 v29, v2, v52
	v_add_f32_e32 v58, v36, v39
	v_sub_f32_e32 v85, v37, v43
	v_add_f32_e32 v32, v41, v38
	v_add_f32_e32 v57, v43, v37
	v_sub_f32_e32 v33, v38, v41
	v_sub_f32_e32 v59, v39, v36
	;; [unrolled: 1-line block ×3, first 2 shown]
	v_add_f32_e32 v36, v52, v2
	v_add_f32_e32 v1, v143, v147
	;; [unrolled: 1-line block ×5, first 2 shown]
	v_sub_f32_e32 v31, v10, v62
	v_add_f32_e32 v35, v62, v10
	v_sub_f32_e32 v4, v143, v147
	v_sub_f32_e32 v10, v132, v135
	;; [unrolled: 1-line block ×4, first 2 shown]
	v_add_f32_e32 v41, v145, v146
	v_add_f32_e32 v43, v130, v137
	v_sub_f32_e32 v52, v146, v145
	v_sub_f32_e32 v55, v137, v130
	v_add_f32_e32 v62, v37, v1
	v_add_f32_e32 v63, v38, v2
	v_sub_f32_e32 v64, v37, v1
	v_sub_f32_e32 v65, v38, v2
	;; [unrolled: 1-line block ×6, first 2 shown]
	v_add_f32_e32 v37, v52, v25
	v_add_f32_e32 v67, v55, v39
	v_sub_f32_e32 v71, v52, v25
	v_sub_f32_e32 v72, v55, v39
	;; [unrolled: 1-line block ×4, first 2 shown]
	v_add_f32_e32 v41, v41, v62
	v_add_f32_e32 v43, v43, v63
	v_sub_f32_e32 v52, v4, v52
	v_sub_f32_e32 v55, v10, v55
	v_add_f32_e32 v4, v37, v4
	v_add_f32_e32 v62, v67, v10
	;; [unrolled: 1-line block ×4, first 2 shown]
	v_mul_f32_e32 v1, 0x3f4a47b2, v1
	v_mul_f32_e32 v2, 0x3f4a47b2, v2
	;; [unrolled: 1-line block ×8, first 2 shown]
	v_fmamk_f32 v41, v41, 0xbf955555, v10
	v_fmamk_f32 v43, v43, 0xbf955555, v37
	v_fma_f32 v49, v64, s12, -v49
	v_fma_f32 v53, v65, s12, -v53
	;; [unrolled: 1-line block ×3, first 2 shown]
	v_fmac_f32_e32 v1, 0x3d64c772, v66
	v_fma_f32 v65, v65, s3, -v2
	v_fmac_f32_e32 v2, 0x3d64c772, v38
	v_fma_f32 v25, v25, s2, -v67
	v_fma_f32 v38, v39, s2, -v71
	v_fmac_f32_e32 v71, 0x3eae86e6, v55
	v_fma_f32 v39, v52, s1, -v63
	v_fma_f32 v66, v55, s1, -v72
	v_fmac_f32_e32 v67, 0x3eae86e6, v52
	v_add_f32_e32 v1, v1, v41
	v_add_f32_e32 v72, v2, v43
	;; [unrolled: 1-line block ×6, first 2 shown]
	v_fmac_f32_e32 v71, 0x3ee1c552, v62
	v_fmac_f32_e32 v25, 0x3ee1c552, v4
	v_fmac_f32_e32 v38, 0x3ee1c552, v62
	v_fmac_f32_e32 v39, 0x3ee1c552, v4
	v_fmac_f32_e32 v66, 0x3ee1c552, v62
	v_fmac_f32_e32 v67, 0x3ee1c552, v4
	v_add_f32_e32 v110, v71, v1
	v_add_f32_e32 v52, v66, v41
	v_sub_f32_e32 v63, v43, v39
	v_sub_f32_e32 v55, v2, v38
	v_add_f32_e32 v64, v25, v53
	v_add_f32_e32 v49, v38, v2
	v_sub_f32_e32 v65, v53, v25
	v_sub_f32_e32 v53, v41, v66
	v_add_f32_e32 v66, v39, v43
	v_sub_f32_e32 v2, v1, v71
	v_add_f32_e32 v1, v148, v154
	v_add_f32_e32 v4, v133, v155
	;; [unrolled: 1-line block ×4, first 2 shown]
	v_sub_f32_e32 v62, v72, v67
	v_add_f32_e32 v67, v67, v72
	v_sub_f32_e32 v25, v148, v154
	v_sub_f32_e32 v21, v21, v153
	v_add_f32_e32 v71, v150, v151
	v_add_f32_e32 v72, v131, v152
	v_sub_f32_e32 v73, v151, v150
	v_add_f32_e32 v75, v39, v1
	v_add_f32_e32 v76, v41, v4
	v_sub_f32_e32 v38, v133, v155
	v_sub_f32_e32 v43, v149, v129
	;; [unrolled: 1-line block ×9, first 2 shown]
	v_add_f32_e32 v4, v73, v21
	v_sub_f32_e32 v81, v73, v21
	v_sub_f32_e32 v21, v21, v25
	v_add_f32_e32 v75, v71, v75
	v_add_f32_e32 v72, v72, v76
	;; [unrolled: 1-line block ×3, first 2 shown]
	v_sub_f32_e32 v82, v74, v43
	v_sub_f32_e32 v73, v25, v73
	v_sub_f32_e32 v43, v43, v38
	v_add_f32_e32 v25, v4, v25
	v_add_f32_e32 v4, v51, v75
	;; [unrolled: 1-line block ×3, first 2 shown]
	v_mul_f32_e32 v1, 0x3f4a47b2, v1
	v_mul_f32_e32 v48, 0x3f4a47b2, v79
	;; [unrolled: 1-line block ×6, first 2 shown]
	v_sub_f32_e32 v74, v38, v74
	v_add_f32_e32 v38, v80, v38
	v_mul_f32_e32 v80, 0xbf08b237, v82
	v_mul_f32_e32 v82, 0x3f5ff5aa, v43
	v_fmamk_f32 v72, v72, 0xbf955555, v71
	v_fma_f32 v51, v77, s12, -v51
	v_fma_f32 v76, v78, s12, -v76
	;; [unrolled: 1-line block ×3, first 2 shown]
	v_fmac_f32_e32 v1, 0x3d64c772, v39
	v_fma_f32 v39, v78, s3, -v48
	v_fma_f32 v21, v21, s2, -v79
	;; [unrolled: 1-line block ×3, first 2 shown]
	v_fmamk_f32 v75, v75, 0xbf955555, v4
	v_fmac_f32_e32 v48, 0x3d64c772, v41
	v_fmac_f32_e32 v79, 0x3eae86e6, v73
	v_fma_f32 v43, v43, s2, -v80
	v_fmac_f32_e32 v80, 0x3eae86e6, v74
	v_fma_f32 v81, v74, s1, -v82
	v_add_f32_e32 v76, v76, v72
	v_add_f32_e32 v90, v39, v72
	v_fmac_f32_e32 v21, 0x3ee1c552, v25
	v_fmac_f32_e32 v78, 0x3ee1c552, v25
	v_add_f32_e32 v1, v1, v75
	v_add_f32_e32 v82, v48, v72
	;; [unrolled: 1-line block ×4, first 2 shown]
	v_fmac_f32_e32 v79, 0x3ee1c552, v25
	v_fmac_f32_e32 v80, 0x3ee1c552, v38
	v_fmac_f32_e32 v43, 0x3ee1c552, v38
	v_fmac_f32_e32 v81, 0x3ee1c552, v38
	v_sub_f32_e32 v73, v90, v78
	v_add_f32_e32 v74, v21, v76
	v_sub_f32_e32 v75, v76, v21
	v_add_f32_e32 v76, v78, v90
	v_add_f32_e32 v21, v156, v0
	v_add_f32_e32 v25, v157, v3
	v_add_f32_e32 v38, v16, v184
	v_add_f32_e32 v78, v127, v185
	v_add_f32_e32 v51, v80, v1
	v_sub_f32_e32 v72, v82, v79
	v_add_f32_e32 v41, v81, v77
	v_sub_f32_e32 v48, v83, v43
	v_add_f32_e32 v39, v43, v83
	v_sub_f32_e32 v43, v77, v81
	v_sub_f32_e32 v1, v1, v80
	v_add_f32_e32 v77, v79, v82
	v_sub_f32_e32 v16, v16, v184
	v_sub_f32_e32 v79, v127, v185
	v_add_f32_e32 v80, v180, v182
	v_add_f32_e32 v81, v181, v183
	v_sub_f32_e32 v82, v182, v180
	v_sub_f32_e32 v83, v183, v181
	v_add_f32_e32 v90, v38, v21
	v_add_f32_e32 v127, v78, v25
	v_sub_f32_e32 v0, v156, v0
	v_sub_f32_e32 v3, v157, v3
	;; [unrolled: 1-line block ×8, first 2 shown]
	v_add_f32_e32 v78, v82, v16
	v_add_f32_e32 v131, v83, v79
	v_sub_f32_e32 v132, v82, v16
	v_add_f32_e32 v80, v80, v90
	v_add_f32_e32 v81, v81, v127
	v_sub_f32_e32 v133, v83, v79
	v_sub_f32_e32 v82, v0, v82
	;; [unrolled: 1-line block ×5, first 2 shown]
	v_add_f32_e32 v0, v78, v0
	v_add_f32_e32 v90, v131, v3
	;; [unrolled: 1-line block ×4, first 2 shown]
	v_mul_f32_e32 v21, 0x3f4a47b2, v21
	v_mul_f32_e32 v25, 0x3f4a47b2, v25
	v_mul_f32_e32 v46, 0x3d64c772, v38
	v_mul_f32_e32 v47, 0x3d64c772, v130
	v_mul_f32_e32 v127, 0xbf08b237, v132
	v_fmamk_f32 v81, v81, 0xbf955555, v78
	v_fma_f32 v46, v128, s12, -v46
	v_fma_f32 v47, v129, s12, -v47
	;; [unrolled: 1-line block ×3, first 2 shown]
	v_fmac_f32_e32 v21, 0x3d64c772, v38
	v_fma_f32 v38, v129, s3, -v25
	v_fma_f32 v129, v16, s2, -v127
	v_mul_f32_e32 v131, 0xbf08b237, v133
	v_mul_f32_e32 v132, 0x3f5ff5aa, v16
	;; [unrolled: 1-line block ×3, first 2 shown]
	v_fmac_f32_e32 v25, 0x3d64c772, v130
	v_add_f32_e32 v47, v47, v81
	v_fmac_f32_e32 v129, 0x3ee1c552, v0
	v_fmac_f32_e32 v127, 0x3eae86e6, v82
	v_fma_f32 v16, v79, s2, -v131
	v_fmac_f32_e32 v131, 0x3eae86e6, v83
	v_fma_f32 v130, v82, s1, -v132
	v_fma_f32 v83, v83, s1, -v133
	v_add_f32_e32 v133, v25, v81
	v_add_f32_e32 v134, v38, v81
	;; [unrolled: 1-line block ×3, first 2 shown]
	v_sub_f32_e32 v82, v47, v129
	v_mov_b32_e32 v47, 2
	v_fmac_f32_e32 v127, 0x3ee1c552, v0
	v_lshlrev_b32_sdwa v45, v47, v45 dst_sel:DWORD dst_unused:UNUSED_PAD src0_sel:DWORD src1_sel:BYTE_0
	v_fmac_f32_e32 v131, 0x3ee1c552, v90
	v_fmac_f32_e32 v16, 0x3ee1c552, v90
	;; [unrolled: 1-line block ×3, first 2 shown]
	v_sub_f32_e32 v79, v133, v127
	v_add_f32_e32 v90, v127, v133
	v_add3_u32 v127, 0, v44, v45
	v_lshlrev_b32_sdwa v11, v47, v11 dst_sel:DWORD dst_unused:UNUSED_PAD src0_sel:DWORD src1_sel:BYTE_0
	ds_write2_b32 v127, v86, v126 offset1:7
	ds_write2_b32 v127, v119, v122 offset0:14 offset1:21
	ds_write2_b32 v127, v118, v120 offset0:28 offset1:35
	ds_write_b32 v127, v50 offset:168
	v_add3_u32 v118, 0, v5, v11
	v_mul_u32_u24_e32 v5, 0xc4, v17
	v_lshlrev_b32_sdwa v11, v47, v34 dst_sel:DWORD dst_unused:UNUSED_PAD src0_sel:DWORD src1_sel:BYTE_0
	v_add3_u32 v34, 0, v5, v11
	v_mul_u32_u24_e32 v5, 0xc4, v28
	v_lshlrev_b32_sdwa v11, v47, v30 dst_sel:DWORD dst_unused:UNUSED_PAD src0_sel:DWORD src1_sel:BYTE_0
	v_add3_u32 v28, 0, v5, v11
	ds_write2_b32 v118, v56, v125 offset1:7
	ds_write2_b32 v118, v113, v115 offset0:14 offset1:21
	ds_write2_b32 v118, v112, v114 offset0:28 offset1:35
	ds_write_b32 v118, v40 offset:168
	ds_write2_b32 v34, v54, v124 offset1:7
	ds_write2_b32 v34, v88, v111 offset0:14 offset1:21
	ds_write2_b32 v34, v87, v95 offset0:28 offset1:35
	ds_write_b32 v34, v19 offset:168
	;; [unrolled: 4-line block ×3, first 2 shown]
	v_mul_u32_u24_e32 v5, 0xc4, v24
	v_lshlrev_b32_sdwa v7, v47, v22 dst_sel:DWORD dst_unused:UNUSED_PAD src0_sel:DWORD src1_sel:BYTE_0
	v_add3_u32 v30, 0, v5, v7
	ds_write2_b32 v30, v10, v110 offset1:7
	ds_write2_b32 v30, v52, v55 offset0:14 offset1:21
	ds_write2_b32 v30, v49, v53 offset0:28 offset1:35
	ds_write_b32 v30, v2 offset:168
	v_mul_u32_u24_e32 v2, 0xc4, v20
	v_lshlrev_b32_e32 v5, 2, v23
	v_fmamk_f32 v80, v80, 0xbf955555, v3
	v_add3_u32 v112, 0, v2, v5
	v_add_f32_e32 v132, v21, v80
	v_add_f32_e32 v25, v46, v80
	;; [unrolled: 1-line block ×3, first 2 shown]
	ds_write2_b32 v112, v4, v51 offset1:7
	ds_write2_b32 v112, v41, v48 offset0:14 offset1:21
	ds_write2_b32 v112, v39, v43 offset0:28 offset1:35
	ds_write_b32 v112, v1 offset:168
	v_mul_u32_u24_e32 v1, 0xc4, v6
	v_lshlrev_b32_e32 v2, 2, v18
	v_fmac_f32_e32 v130, 0x3ee1c552, v0
	v_add_f32_e32 v46, v131, v132
	v_add_f32_e32 v21, v83, v128
	v_sub_f32_e32 v38, v25, v16
	v_add_f32_e32 v16, v16, v25
	v_sub_f32_e32 v25, v128, v83
	v_sub_f32_e32 v0, v132, v131
	v_add3_u32 v113, 0, v1, v2
	v_sub_f32_e32 v80, v134, v130
	v_add_f32_e32 v83, v130, v134
	ds_write2_b32 v113, v3, v46 offset1:7
	ds_write2_b32 v113, v21, v38 offset0:14 offset1:21
	ds_write2_b32 v113, v16, v25 offset0:28 offset1:35
	ds_write_b32 v113, v0 offset:168
	s_waitcnt lgkmcnt(0)
	; wave barrier
	s_waitcnt lgkmcnt(0)
	ds_read_b32 v111, v174
	ds_read2_b32 v[58:59], v169 offset0:87 offset1:136
	ds_read2_b32 v[22:23], v170 offset0:125 offset1:174
	;; [unrolled: 1-line block ×6, first 2 shown]
	ds_read_b32 v110, v179
	ds_read2_b32 v[52:53], v172 offset0:95 offset1:144
	ds_read2_b32 v[50:51], v171 offset0:141 offset1:190
	ds_read2_b32 v[48:49], v160 offset0:59 offset1:108
	ds_read_b32 v95, v178
	ds_read2_b32 v[46:47], v169 offset0:185 offset1:234
	ds_read2_b32 v[44:45], v164 offset0:103 offset1:152
	ds_read2_b32 v[42:43], v168 offset0:21 offset1:70
	;; [unrolled: 4-line block ×5, first 2 shown]
	ds_read_b32 v85, v84
	s_waitcnt lgkmcnt(0)
	; wave barrier
	s_waitcnt lgkmcnt(0)
	ds_write2_b32 v127, v92, v108 offset1:7
	ds_write2_b32 v127, v102, v106 offset0:14 offset1:21
	ds_write2_b32 v127, v101, v105 offset0:28 offset1:35
	ds_write_b32 v127, v104 offset:168
	ds_write2_b32 v118, v91, v107 offset1:7
	ds_write2_b32 v118, v97, v100 offset0:14 offset1:21
	ds_write2_b32 v118, v96, v98 offset0:28 offset1:35
	ds_write_b32 v118, v60 offset:168
	ds_write2_b32 v34, v61, v70 offset1:7
	ds_write2_b32 v34, v68, v69 offset0:14 offset1:21
	ds_write2_b32 v34, v14, v15 offset0:28 offset1:35
	ds_write_b32 v34, v26 offset:168
	ds_write2_b32 v28, v27, v29 offset1:7
	ds_write2_b32 v28, v31, v32 offset0:14 offset1:21
	ds_write2_b32 v28, v33, v35 offset0:28 offset1:35
	ds_write_b32 v28, v36 offset:168
	ds_write2_b32 v30, v37, v62 offset1:7
	ds_write2_b32 v30, v63, v64 offset0:14 offset1:21
	ds_write2_b32 v30, v65, v66 offset0:28 offset1:35
	ds_write_b32 v30, v67 offset:168
	ds_write2_b32 v112, v71, v72 offset1:7
	ds_write2_b32 v112, v73, v74 offset0:14 offset1:21
	ds_write2_b32 v112, v75, v76 offset0:28 offset1:35
	ds_write_b32 v112, v77 offset:168
	ds_write2_b32 v113, v78, v79 offset1:7
	ds_write2_b32 v113, v80, v81 offset0:14 offset1:21
	ds_write2_b32 v113, v82, v83 offset0:28 offset1:35
	ds_write_b32 v113, v90 offset:168
	v_mul_u32_u24_e32 v14, 6, v161
	v_lshlrev_b32_e32 v14, 3, v14
	s_waitcnt lgkmcnt(0)
	; wave barrier
	s_waitcnt lgkmcnt(0)
	ds_read_b32 v92, v174
	ds_read2_b32 v[96:97], v169 offset0:87 offset1:136
	ds_read2_b32 v[34:35], v170 offset0:125 offset1:174
	;; [unrolled: 1-line block ×6, first 2 shown]
	ds_read_b32 v91, v179
	ds_read2_b32 v[82:83], v172 offset0:95 offset1:144
	ds_read2_b32 v[80:81], v171 offset0:141 offset1:190
	ds_read2_b32 v[78:79], v160 offset0:59 offset1:108
	ds_read_b32 v90, v178
	ds_read2_b32 v[76:77], v169 offset0:185 offset1:234
	ds_read2_b32 v[74:75], v164 offset0:103 offset1:152
	ds_read2_b32 v[72:73], v168 offset0:21 offset1:70
	;; [unrolled: 4-line block ×5, first 2 shown]
	ds_read_b32 v115, v84
	global_load_dwordx4 v[124:127], v14, s[4:5] offset:368
	global_load_dwordx4 v[128:131], v14, s[4:5] offset:352
	;; [unrolled: 1-line block ×3, first 2 shown]
	s_waitcnt vmcnt(2)
	v_mul_f32_e32 v114, v11, v127
	s_waitcnt lgkmcnt(14)
	v_fmac_f32_e32 v114, v27, v126
	s_waitcnt vmcnt(0)
	v_mul_f32_e32 v15, v96, v133
	v_fma_f32 v106, v58, v132, -v15
	v_mul_f32_e32 v15, v35, v135
	v_mul_f32_e32 v107, v58, v133
	v_fma_f32 v104, v23, v134, -v15
	v_mul_f32_e32 v105, v23, v135
	v_mul_f32_e32 v15, v100, v129
	v_fmac_f32_e32 v107, v96, v132
	v_fmac_f32_e32 v105, v35, v134
	v_fma_f32 v35, v56, v128, -v15
	v_mul_f32_e32 v96, v56, v129
	v_mul_f32_e32 v15, v31, v131
	v_fmac_f32_e32 v96, v100, v128
	v_fma_f32 v100, v19, v130, -v15
	v_mul_f32_e32 v15, v136, v125
	v_fma_f32 v108, v54, v124, -v15
	v_mul_f32_e32 v15, v27, v127
	;; [unrolled: 2-line block ×4, first 2 shown]
	v_mul_f32_e32 v112, v54, v125
	v_fma_f32 v54, v52, v134, -v11
	v_mul_f32_e32 v11, v101, v129
	v_fma_f32 v56, v57, v128, -v11
	v_mul_f32_e32 v11, v80, v131
	v_mul_f32_e32 v102, v19, v131
	v_fma_f32 v58, v50, v130, -v11
	v_mul_f32_e32 v11, v137, v125
	v_fmac_f32_e32 v102, v31, v130
	v_mul_f32_e32 v31, v59, v133
	v_mul_f32_e32 v50, v50, v131
	v_fma_f32 v59, v55, v124, -v11
	v_mul_f32_e32 v11, v78, v127
	v_fmac_f32_e32 v50, v80, v130
	v_fma_f32 v80, v48, v126, -v11
	v_mul_lo_u16_sdwa v11, v117, s9 dst_sel:DWORD dst_unused:UNUSED_PAD src0_sel:BYTE_0 src1_sel:DWORD
	v_sub_u16_sdwa v15, v117, v11 dst_sel:DWORD dst_unused:UNUSED_PAD src0_sel:DWORD src1_sel:BYTE_1
	v_lshrrev_b16_e32 v15, 1, v15
	v_and_b32_e32 v15, 0x7f, v15
	v_add_u16_sdwa v11, v15, v11 dst_sel:DWORD dst_unused:UNUSED_PAD src0_sel:DWORD src1_sel:BYTE_1
	v_lshrrev_b16_e32 v11, 5, v11
	v_mul_lo_u16_e32 v11, 49, v11
	v_sub_u16_e32 v11, v117, v11
	v_and_b32_e32 v19, 0xff, v11
	v_mul_u32_u24_e32 v11, 6, v19
	v_mul_f32_e32 v52, v52, v135
	v_mul_f32_e32 v57, v57, v129
	;; [unrolled: 1-line block ×4, first 2 shown]
	v_lshlrev_b32_e32 v11, 3, v11
	v_fmac_f32_e32 v112, v136, v124
	v_fmac_f32_e32 v52, v82, v134
	;; [unrolled: 1-line block ×5, first 2 shown]
	global_load_dwordx4 v[124:127], v11, s[4:5] offset:368
	global_load_dwordx4 v[134:137], v11, s[4:5] offset:352
	;; [unrolled: 1-line block ×3, first 2 shown]
	v_fmac_f32_e32 v31, v97, v132
	s_waitcnt vmcnt(2)
	v_mul_f32_e32 v139, v49, v127
	s_waitcnt vmcnt(1)
	v_mul_f32_e32 v133, v44, v135
	;; [unrolled: 2-line block ×3, first 2 shown]
	v_fma_f32 v97, v46, v128, -v11
	v_mul_f32_e32 v11, v83, v131
	v_fma_f32 v101, v53, v130, -v11
	v_mul_f32_e32 v11, v74, v135
	;; [unrolled: 2-line block ×3, first 2 shown]
	v_fmac_f32_e32 v133, v74, v134
	v_fma_f32 v134, v51, v136, -v11
	v_mul_f32_e32 v135, v51, v137
	s_waitcnt lgkmcnt(13)
	v_mul_f32_e32 v11, v72, v125
	v_fmac_f32_e32 v135, v81, v136
	v_fma_f32 v136, v42, v124, -v11
	v_mul_f32_e32 v11, v79, v127
	v_fma_f32 v138, v49, v126, -v11
	v_mul_lo_u16_sdwa v11, v109, s9 dst_sel:DWORD dst_unused:UNUSED_PAD src0_sel:BYTE_0 src1_sel:DWORD
	v_sub_u16_sdwa v15, v109, v11 dst_sel:DWORD dst_unused:UNUSED_PAD src0_sel:DWORD src1_sel:BYTE_1
	v_lshrrev_b16_e32 v15, 1, v15
	v_and_b32_e32 v15, 0x7f, v15
	v_add_u16_sdwa v11, v15, v11 dst_sel:DWORD dst_unused:UNUSED_PAD src0_sel:DWORD src1_sel:BYTE_1
	v_lshrrev_b16_e32 v11, 5, v11
	v_mul_lo_u16_e32 v11, 49, v11
	v_sub_u16_e32 v11, v109, v11
	v_and_b32_e32 v15, 0xff, v11
	v_mul_u32_u24_e32 v11, 6, v15
	v_mul_f32_e32 v98, v46, v129
	v_lshlrev_b32_e32 v11, 3, v11
	v_fmac_f32_e32 v98, v76, v128
	v_fmac_f32_e32 v139, v79, v126
	global_load_dwordx4 v[140:143], v11, s[4:5] offset:368
	global_load_dwordx4 v[126:129], v11, s[4:5] offset:352
	;; [unrolled: 1-line block ×3, first 2 shown]
	v_mul_f32_e32 v131, v53, v131
	v_fmac_f32_e32 v131, v83, v130
	v_mul_f32_e32 v137, v42, v125
	v_fmac_f32_e32 v137, v72, v124
	v_lshl_add_u32 v15, v15, 2, 0
	s_waitcnt vmcnt(2)
	v_mul_f32_e32 v130, v6, v143
	s_waitcnt vmcnt(1)
	v_mul_f32_e32 v124, v45, v127
	;; [unrolled: 2-line block ×3, first 2 shown]
	v_fma_f32 v82, v47, v144, -v11
	v_mul_f32_e32 v83, v47, v145
	s_waitcnt lgkmcnt(11)
	v_mul_f32_e32 v11, v70, v147
	v_fmac_f32_e32 v83, v77, v144
	v_fma_f32 v77, v40, v146, -v11
	v_mul_f32_e32 v11, v75, v127
	v_fma_f32 v122, v45, v126, -v11
	s_waitcnt lgkmcnt(10)
	v_mul_f32_e32 v11, v68, v129
	v_fma_f32 v125, v38, v128, -v11
	v_mul_f32_e32 v11, v73, v141
	v_fma_f32 v127, v43, v140, -v11
	s_waitcnt lgkmcnt(9)
	v_mul_f32_e32 v11, v66, v143
	v_fmac_f32_e32 v124, v75, v126
	v_mul_f32_e32 v126, v38, v129
	v_fma_f32 v129, v6, v142, -v11
	v_mul_lo_u16_sdwa v6, v121, s9 dst_sel:DWORD dst_unused:UNUSED_PAD src0_sel:BYTE_0 src1_sel:DWORD
	v_sub_u16_sdwa v11, v121, v6 dst_sel:DWORD dst_unused:UNUSED_PAD src0_sel:DWORD src1_sel:BYTE_1
	v_lshrrev_b16_e32 v11, 1, v11
	v_and_b32_e32 v11, 0x7f, v11
	v_add_u16_sdwa v6, v11, v6 dst_sel:DWORD dst_unused:UNUSED_PAD src0_sel:DWORD src1_sel:BYTE_1
	v_lshrrev_b16_e32 v6, 5, v6
	v_mul_lo_u16_e32 v6, 49, v6
	v_sub_u16_e32 v6, v121, v6
	v_and_b32_e32 v11, 0xff, v6
	v_mul_u32_u24_e32 v6, 6, v11
	v_fmac_f32_e32 v126, v68, v128
	v_mul_f32_e32 v128, v43, v141
	v_lshlrev_b32_e32 v6, 3, v6
	v_fmac_f32_e32 v128, v73, v140
	v_fmac_f32_e32 v130, v66, v142
	global_load_dwordx4 v[72:75], v6, s[4:5] offset:368
	global_load_dwordx4 v[140:143], v6, s[4:5] offset:352
	global_load_dwordx4 v[42:45], v6, s[4:5] offset:336
	v_mul_f32_e32 v120, v40, v147
	s_movk_i32 s9, 0x4e5f
	v_fmac_f32_e32 v120, v70, v146
	v_lshl_add_u32 v11, v11, 2, 0
	s_waitcnt vmcnt(2)
	v_mul_f32_e32 v49, v0, v73
	v_mul_f32_e32 v53, v7, v75
	s_waitcnt vmcnt(0) lgkmcnt(7)
	v_mul_f32_e32 v6, v64, v43
	v_fma_f32 v38, v4, v42, -v6
	v_mul_f32_e32 v40, v4, v43
	v_mul_f32_e32 v4, v71, v45
	v_fmac_f32_e32 v40, v64, v42
	v_fma_f32 v42, v41, v44, -v4
	v_mul_f32_e32 v41, v41, v45
	s_waitcnt lgkmcnt(6)
	v_mul_f32_e32 v4, v62, v141
	v_fmac_f32_e32 v41, v71, v44
	v_fma_f32 v43, v2, v140, -v4
	v_mul_f32_e32 v44, v2, v141
	v_mul_f32_e32 v2, v69, v143
	v_fma_f32 v46, v39, v142, -v2
	s_waitcnt lgkmcnt(5)
	v_mul_f32_e32 v2, v60, v73
	v_fma_f32 v47, v0, v72, -v2
	v_mul_f32_e32 v0, v67, v75
	v_fma_f32 v51, v7, v74, -v0
	v_mul_u32_u24_sdwa v0, v123, s9 dst_sel:DWORD dst_unused:UNUSED_PAD src0_sel:WORD_0 src1_sel:DWORD
	v_sub_u16_sdwa v2, v123, v0 dst_sel:DWORD dst_unused:UNUSED_PAD src0_sel:DWORD src1_sel:WORD_1
	v_lshrrev_b16_e32 v2, 1, v2
	v_add_u16_sdwa v0, v2, v0 dst_sel:DWORD dst_unused:UNUSED_PAD src0_sel:DWORD src1_sel:WORD_1
	v_lshrrev_b16_e32 v0, 5, v0
	v_mul_lo_u16_e32 v0, 49, v0
	v_sub_u16_e32 v23, v123, v0
	v_mul_u32_u24_e32 v0, 6, v23
	v_mul_f32_e32 v39, v39, v143
	v_lshlrev_b32_e32 v0, 3, v0
	v_fmac_f32_e32 v39, v69, v142
	v_fmac_f32_e32 v49, v60, v72
	;; [unrolled: 1-line block ×3, first 2 shown]
	global_load_dwordx4 v[68:71], v0, s[4:5] offset:368
	global_load_dwordx4 v[72:75], v0, s[4:5] offset:352
	;; [unrolled: 1-line block ×3, first 2 shown]
	v_fmac_f32_e32 v44, v62, v140
	v_lshl_add_u32 v23, v23, 2, 0
	s_waitcnt vmcnt(2)
	v_mul_f32_e32 v146, v1, v69
	v_fmac_f32_e32 v146, v61, v68
	s_waitcnt vmcnt(0)
	v_mul_f32_e32 v0, v65, v143
	v_fma_f32 v67, v5, v142, -v0
	s_waitcnt lgkmcnt(3)
	v_mul_f32_e32 v0, v36, v145
	v_mul_f32_e32 v140, v5, v143
	v_fma_f32 v141, v24, v144, -v0
	v_mul_f32_e32 v0, v63, v73
	v_fmac_f32_e32 v140, v65, v142
	v_mul_f32_e32 v24, v24, v145
	v_fma_f32 v142, v3, v72, -v0
	s_waitcnt lgkmcnt(2)
	v_mul_f32_e32 v0, v32, v75
	v_fmac_f32_e32 v24, v36, v144
	v_fma_f32 v144, v20, v74, -v0
	v_mul_f32_e32 v145, v20, v75
	v_mul_f32_e32 v0, v61, v69
	v_fmac_f32_e32 v145, v32, v74
	v_fma_f32 v32, v1, v68, -v0
	s_waitcnt lgkmcnt(1)
	v_mul_f32_e32 v0, v28, v71
	v_fma_f32 v61, v16, v70, -v0
	v_mul_u32_u24_sdwa v0, v165, s9 dst_sel:DWORD dst_unused:UNUSED_PAD src0_sel:WORD_0 src1_sel:DWORD
	v_sub_u16_sdwa v1, v165, v0 dst_sel:DWORD dst_unused:UNUSED_PAD src0_sel:DWORD src1_sel:WORD_1
	v_lshrrev_b16_e32 v1, 1, v1
	v_add_u16_sdwa v0, v1, v0 dst_sel:DWORD dst_unused:UNUSED_PAD src0_sel:DWORD src1_sel:WORD_1
	v_lshrrev_b16_e32 v0, 5, v0
	v_mul_lo_u16_e32 v0, 49, v0
	v_mul_f32_e32 v147, v16, v71
	v_sub_u16_e32 v16, v165, v0
	v_mul_u32_u24_e32 v0, 6, v16
	v_mul_f32_e32 v143, v3, v73
	v_lshlrev_b32_e32 v20, 3, v0
	v_fmac_f32_e32 v143, v63, v72
	global_load_dwordx4 v[0:3], v20, s[4:5] offset:368
	global_load_dwordx4 v[4:7], v20, s[4:5] offset:352
	;; [unrolled: 1-line block ×3, first 2 shown]
	v_fmac_f32_e32 v147, v28, v70
	v_lshl_add_u32 v16, v16, 2, 0
	s_waitcnt lgkmcnt(0)
	; wave barrier
	s_waitcnt vmcnt(2) lgkmcnt(0)
	v_mul_f32_e32 v155, v10, v1
	s_waitcnt vmcnt(1)
	v_mul_f32_e32 v152, v18, v5
	s_waitcnt vmcnt(0)
	v_mul_f32_e32 v20, v34, v63
	v_fma_f32 v148, v22, v62, -v20
	v_mul_f32_e32 v149, v22, v63
	v_mul_f32_e32 v20, v37, v65
	v_fmac_f32_e32 v149, v34, v62
	v_fma_f32 v34, v25, v64, -v20
	v_mul_f32_e32 v20, v30, v5
	v_fma_f32 v151, v18, v4, -v20
	v_fmac_f32_e32 v152, v30, v4
	v_mul_f32_e32 v4, v33, v7
	v_fma_f32 v30, v21, v6, -v4
	v_mul_f32_e32 v4, v26, v1
	v_fma_f32 v154, v10, v0, -v4
	v_fmac_f32_e32 v155, v26, v0
	v_mul_f32_e32 v0, v29, v3
	v_mul_f32_e32 v153, v21, v7
	v_fma_f32 v26, v17, v2, -v0
	v_mul_f32_e32 v156, v17, v3
	v_add_f32_e32 v0, v106, v113
	v_add_f32_e32 v1, v107, v114
	v_add_f32_e32 v4, v104, v108
	v_add_f32_e32 v5, v105, v112
	v_fmac_f32_e32 v153, v33, v6
	v_fmac_f32_e32 v156, v29, v2
	v_sub_f32_e32 v2, v106, v113
	v_sub_f32_e32 v6, v104, v108
	;; [unrolled: 1-line block ×3, first 2 shown]
	v_add_f32_e32 v10, v35, v100
	v_add_f32_e32 v17, v96, v102
	v_sub_f32_e32 v18, v100, v35
	v_sub_f32_e32 v20, v102, v96
	v_add_f32_e32 v21, v4, v0
	v_add_f32_e32 v22, v5, v1
	v_mul_f32_e32 v150, v25, v65
	v_sub_f32_e32 v3, v107, v114
	v_sub_f32_e32 v28, v4, v0
	;; [unrolled: 1-line block ×7, first 2 shown]
	v_add_f32_e32 v25, v18, v6
	v_add_f32_e32 v33, v20, v7
	v_sub_f32_e32 v35, v18, v6
	v_sub_f32_e32 v36, v20, v7
	;; [unrolled: 1-line block ×3, first 2 shown]
	v_add_f32_e32 v10, v10, v21
	v_add_f32_e32 v17, v17, v22
	v_sub_f32_e32 v18, v2, v18
	v_sub_f32_e32 v20, v3, v20
	;; [unrolled: 1-line block ×3, first 2 shown]
	v_add_f32_e32 v2, v25, v2
	v_add_f32_e32 v3, v33, v3
	;; [unrolled: 1-line block ×4, first 2 shown]
	v_mul_f32_e32 v0, 0x3f4a47b2, v0
	v_mul_f32_e32 v1, 0x3f4a47b2, v1
	v_mul_f32_e32 v21, 0x3d64c772, v4
	v_mul_f32_e32 v22, 0x3d64c772, v5
	v_mul_f32_e32 v33, 0xbf08b237, v35
	v_mul_f32_e32 v35, 0xbf08b237, v36
	v_mul_f32_e32 v36, 0x3f5ff5aa, v6
	v_fmac_f32_e32 v150, v37, v64
	v_mul_f32_e32 v37, 0x3f5ff5aa, v7
	v_fmamk_f32 v10, v10, 0xbf955555, v25
	v_fmamk_f32 v17, v17, 0xbf955555, v75
	v_fma_f32 v21, v28, s12, -v21
	v_fma_f32 v22, v29, s12, -v22
	;; [unrolled: 1-line block ×3, first 2 shown]
	v_fmac_f32_e32 v0, 0x3d64c772, v4
	v_fma_f32 v4, v29, s3, -v1
	v_fmac_f32_e32 v1, 0x3d64c772, v5
	v_fma_f32 v5, v6, s2, -v33
	;; [unrolled: 2-line block ×4, first 2 shown]
	v_fma_f32 v18, v20, s1, -v37
	v_add_f32_e32 v0, v0, v10
	v_add_f32_e32 v1, v1, v17
	;; [unrolled: 1-line block ×5, first 2 shown]
	v_fmac_f32_e32 v33, 0x3ee1c552, v2
	v_fmac_f32_e32 v35, 0x3ee1c552, v3
	;; [unrolled: 1-line block ×4, first 2 shown]
	v_add_f32_e32 v10, v28, v10
	v_fmac_f32_e32 v6, 0x3ee1c552, v3
	v_fmac_f32_e32 v18, 0x3ee1c552, v3
	v_add_f32_e32 v81, v35, v0
	v_sub_f32_e32 v102, v1, v33
	v_sub_f32_e32 v104, v4, v7
	v_add_f32_e32 v105, v5, v21
	v_sub_f32_e32 v106, v21, v5
	v_add_f32_e32 v107, v7, v4
	;; [unrolled: 2-line block ×3, first 2 shown]
	v_add_f32_e32 v0, v27, v80
	v_add_f32_e32 v1, v31, v48
	;; [unrolled: 1-line block ×5, first 2 shown]
	v_sub_f32_e32 v76, v20, v6
	v_add_f32_e32 v71, v6, v20
	v_sub_f32_e32 v74, v10, v18
	v_sub_f32_e32 v2, v27, v80
	;; [unrolled: 1-line block ×4, first 2 shown]
	v_add_f32_e32 v10, v56, v58
	v_add_f32_e32 v17, v57, v50
	v_sub_f32_e32 v18, v58, v56
	v_sub_f32_e32 v20, v50, v57
	v_add_f32_e32 v21, v4, v0
	v_add_f32_e32 v22, v5, v1
	v_sub_f32_e32 v3, v31, v48
	v_sub_f32_e32 v27, v4, v0
	v_sub_f32_e32 v28, v5, v1
	v_sub_f32_e32 v0, v0, v10
	v_sub_f32_e32 v1, v1, v17
	v_sub_f32_e32 v4, v10, v4
	v_sub_f32_e32 v5, v17, v5
	v_add_f32_e32 v29, v18, v6
	v_add_f32_e32 v31, v20, v7
	v_sub_f32_e32 v33, v18, v6
	v_sub_f32_e32 v36, v20, v7
	v_sub_f32_e32 v6, v6, v2
	v_add_f32_e32 v10, v10, v21
	v_add_f32_e32 v17, v17, v22
	v_sub_f32_e32 v18, v2, v18
	v_sub_f32_e32 v20, v3, v20
	v_sub_f32_e32 v7, v7, v3
	v_add_f32_e32 v2, v29, v2
	v_add_f32_e32 v3, v31, v3
	;; [unrolled: 1-line block ×4, first 2 shown]
	v_mul_f32_e32 v0, 0x3f4a47b2, v0
	v_mul_f32_e32 v1, 0x3f4a47b2, v1
	;; [unrolled: 1-line block ×8, first 2 shown]
	v_fmamk_f32 v10, v10, 0xbf955555, v73
	v_fmamk_f32 v17, v17, 0xbf955555, v110
	v_fma_f32 v21, v27, s12, -v21
	v_fma_f32 v22, v28, s12, -v22
	;; [unrolled: 1-line block ×3, first 2 shown]
	v_fmac_f32_e32 v0, 0x3d64c772, v4
	v_fma_f32 v4, v28, s3, -v1
	v_fmac_f32_e32 v1, 0x3d64c772, v5
	v_fma_f32 v5, v6, s2, -v29
	;; [unrolled: 2-line block ×4, first 2 shown]
	v_fma_f32 v18, v20, s1, -v36
	v_add_f32_e32 v0, v0, v10
	v_add_f32_e32 v1, v1, v17
	;; [unrolled: 1-line block ×5, first 2 shown]
	v_fmac_f32_e32 v29, 0x3ee1c552, v2
	v_fmac_f32_e32 v31, 0x3ee1c552, v3
	;; [unrolled: 1-line block ×4, first 2 shown]
	v_add_f32_e32 v10, v27, v10
	v_fmac_f32_e32 v6, 0x3ee1c552, v3
	v_fmac_f32_e32 v18, 0x3ee1c552, v3
	v_add_f32_e32 v78, v31, v0
	v_sub_f32_e32 v113, v1, v29
	v_sub_f32_e32 v114, v4, v7
	v_add_f32_e32 v111, v5, v21
	v_sub_f32_e32 v112, v21, v5
	v_add_f32_e32 v96, v7, v4
	;; [unrolled: 2-line block ×3, first 2 shown]
	v_add_f32_e32 v0, v97, v138
	v_add_f32_e32 v1, v98, v139
	;; [unrolled: 1-line block ×5, first 2 shown]
	v_sub_f32_e32 v66, v20, v6
	v_add_f32_e32 v70, v6, v20
	v_sub_f32_e32 v65, v10, v18
	v_sub_f32_e32 v2, v97, v138
	;; [unrolled: 1-line block ×4, first 2 shown]
	v_add_f32_e32 v10, v132, v134
	v_add_f32_e32 v17, v133, v135
	v_sub_f32_e32 v18, v134, v132
	v_sub_f32_e32 v20, v135, v133
	v_add_f32_e32 v21, v4, v0
	v_add_f32_e32 v22, v5, v1
	v_sub_f32_e32 v3, v98, v139
	v_sub_f32_e32 v27, v4, v0
	;; [unrolled: 1-line block ×7, first 2 shown]
	v_add_f32_e32 v29, v18, v6
	v_add_f32_e32 v31, v20, v7
	v_sub_f32_e32 v33, v18, v6
	v_sub_f32_e32 v36, v20, v7
	;; [unrolled: 1-line block ×3, first 2 shown]
	v_add_f32_e32 v10, v10, v21
	v_add_f32_e32 v17, v17, v22
	v_sub_f32_e32 v18, v2, v18
	v_sub_f32_e32 v20, v3, v20
	;; [unrolled: 1-line block ×3, first 2 shown]
	v_add_f32_e32 v2, v29, v2
	v_add_f32_e32 v3, v31, v3
	;; [unrolled: 1-line block ×4, first 2 shown]
	v_mul_f32_e32 v0, 0x3f4a47b2, v0
	v_mul_f32_e32 v1, 0x3f4a47b2, v1
	;; [unrolled: 1-line block ×8, first 2 shown]
	v_fmamk_f32 v10, v10, 0xbf955555, v45
	v_fmamk_f32 v17, v17, 0xbf955555, v90
	v_fma_f32 v21, v27, s12, -v21
	v_fma_f32 v22, v28, s12, -v22
	;; [unrolled: 1-line block ×3, first 2 shown]
	v_fmac_f32_e32 v0, 0x3d64c772, v4
	v_fma_f32 v4, v28, s3, -v1
	v_fmac_f32_e32 v1, 0x3d64c772, v5
	v_fma_f32 v5, v6, s2, -v29
	;; [unrolled: 2-line block ×4, first 2 shown]
	v_fma_f32 v18, v20, s1, -v36
	v_add_f32_e32 v0, v0, v10
	v_add_f32_e32 v1, v1, v17
	v_add_f32_e32 v20, v21, v10
	v_add_f32_e32 v21, v22, v17
	v_add_f32_e32 v4, v4, v17
	v_fmac_f32_e32 v29, 0x3ee1c552, v2
	v_fmac_f32_e32 v31, 0x3ee1c552, v3
	;; [unrolled: 1-line block ×4, first 2 shown]
	v_add_f32_e32 v10, v27, v10
	v_fmac_f32_e32 v6, 0x3ee1c552, v3
	v_fmac_f32_e32 v18, 0x3ee1c552, v3
	v_add_f32_e32 v80, v31, v0
	v_sub_f32_e32 v101, v1, v29
	v_sub_f32_e32 v92, v4, v7
	v_add_f32_e32 v97, v5, v21
	v_sub_f32_e32 v91, v21, v5
	v_add_f32_e32 v95, v7, v4
	;; [unrolled: 2-line block ×3, first 2 shown]
	v_add_f32_e32 v0, v82, v129
	v_add_f32_e32 v1, v83, v130
	;; [unrolled: 1-line block ×5, first 2 shown]
	v_sub_f32_e32 v63, v20, v6
	v_add_f32_e32 v58, v6, v20
	v_sub_f32_e32 v62, v10, v18
	v_sub_f32_e32 v6, v77, v127
	;; [unrolled: 1-line block ×3, first 2 shown]
	v_add_f32_e32 v10, v122, v125
	v_add_f32_e32 v17, v124, v126
	v_sub_f32_e32 v18, v125, v122
	v_sub_f32_e32 v20, v126, v124
	v_add_f32_e32 v21, v4, v0
	v_add_f32_e32 v22, v5, v1
	v_sub_f32_e32 v2, v82, v129
	v_sub_f32_e32 v3, v83, v130
	;; [unrolled: 1-line block ×8, first 2 shown]
	v_add_f32_e32 v29, v18, v6
	v_sub_f32_e32 v33, v18, v6
	v_sub_f32_e32 v37, v20, v7
	v_add_f32_e32 v21, v10, v21
	v_add_f32_e32 v17, v17, v22
	;; [unrolled: 1-line block ×3, first 2 shown]
	v_sub_f32_e32 v18, v2, v18
	v_sub_f32_e32 v20, v3, v20
	;; [unrolled: 1-line block ×4, first 2 shown]
	v_add_f32_e32 v2, v29, v2
	v_add_f32_e32 v36, v88, v21
	;; [unrolled: 1-line block ×3, first 2 shown]
	v_mul_f32_e32 v0, 0x3f4a47b2, v0
	v_mul_f32_e32 v1, 0x3f4a47b2, v1
	;; [unrolled: 1-line block ×6, first 2 shown]
	v_add_f32_e32 v3, v31, v3
	v_mul_f32_e32 v31, 0x3f5ff5aa, v6
	v_mul_f32_e32 v48, 0x3f5ff5aa, v7
	v_fmamk_f32 v21, v21, 0xbf955555, v36
	v_fmamk_f32 v17, v17, 0xbf955555, v10
	v_fma_f32 v22, v27, s12, -v22
	v_fma_f32 v29, v28, s12, -v29
	;; [unrolled: 1-line block ×3, first 2 shown]
	v_fmac_f32_e32 v0, 0x3d64c772, v4
	v_fma_f32 v4, v28, s3, -v1
	v_fmac_f32_e32 v1, 0x3d64c772, v5
	v_fma_f32 v5, v6, s2, -v33
	;; [unrolled: 2-line block ×4, first 2 shown]
	v_fma_f32 v28, v20, s1, -v48
	v_add_f32_e32 v0, v0, v21
	v_add_f32_e32 v1, v1, v17
	;; [unrolled: 1-line block ×4, first 2 shown]
	v_fmac_f32_e32 v33, 0x3ee1c552, v2
	v_fmac_f32_e32 v37, 0x3ee1c552, v3
	;; [unrolled: 1-line block ×4, first 2 shown]
	v_add_f32_e32 v27, v27, v21
	v_add_f32_e32 v4, v4, v17
	v_fmac_f32_e32 v7, 0x3ee1c552, v2
	v_fmac_f32_e32 v28, 0x3ee1c552, v3
	v_add_f32_e32 v77, v37, v0
	v_sub_f32_e32 v31, v1, v33
	v_sub_f32_e32 v56, v20, v6
	v_add_f32_e32 v21, v5, v22
	v_add_f32_e32 v52, v6, v20
	v_sub_f32_e32 v20, v22, v5
	v_sub_f32_e32 v57, v0, v37
	v_add_f32_e32 v0, v33, v1
	v_add_f32_e32 v1, v38, v51
	;; [unrolled: 1-line block ×6, first 2 shown]
	v_sub_f32_e32 v18, v4, v7
	v_sub_f32_e32 v55, v27, v28
	v_add_f32_e32 v22, v7, v4
	v_sub_f32_e32 v3, v38, v51
	v_sub_f32_e32 v4, v40, v53
	;; [unrolled: 1-line block ×4, first 2 shown]
	v_add_f32_e32 v27, v43, v46
	v_add_f32_e32 v28, v44, v39
	v_sub_f32_e32 v29, v46, v43
	v_sub_f32_e32 v33, v39, v44
	v_add_f32_e32 v37, v5, v1
	v_add_f32_e32 v38, v6, v2
	v_sub_f32_e32 v39, v5, v1
	v_sub_f32_e32 v40, v6, v2
	v_sub_f32_e32 v41, v1, v27
	v_sub_f32_e32 v2, v2, v28
	v_sub_f32_e32 v5, v27, v5
	v_sub_f32_e32 v6, v28, v6
	v_add_f32_e32 v1, v29, v7
	v_add_f32_e32 v42, v33, v17
	v_sub_f32_e32 v43, v29, v7
	v_sub_f32_e32 v44, v33, v17
	;; [unrolled: 1-line block ×4, first 2 shown]
	v_add_f32_e32 v27, v27, v37
	v_add_f32_e32 v37, v28, v38
	v_sub_f32_e32 v29, v3, v29
	v_sub_f32_e32 v33, v4, v33
	v_add_f32_e32 v3, v1, v3
	v_add_f32_e32 v4, v42, v4
	;; [unrolled: 1-line block ×4, first 2 shown]
	v_mul_f32_e32 v38, 0x3f4a47b2, v41
	v_mul_f32_e32 v2, 0x3f4a47b2, v2
	;; [unrolled: 1-line block ×8, first 2 shown]
	v_fmamk_f32 v27, v27, 0xbf955555, v28
	v_fmamk_f32 v37, v37, 0xbf955555, v1
	v_fma_f32 v41, v39, s12, -v41
	v_fma_f32 v42, v40, s12, -v42
	v_fma_f32 v39, v39, s3, -v38
	v_fmac_f32_e32 v38, 0x3d64c772, v5
	v_fma_f32 v5, v40, s3, -v2
	v_fmac_f32_e32 v2, 0x3d64c772, v6
	v_fma_f32 v6, v7, s2, -v43
	;; [unrolled: 2-line block ×3, first 2 shown]
	v_fma_f32 v17, v29, s1, -v46
	v_fma_f32 v29, v33, s1, -v47
	v_fmac_f32_e32 v44, 0x3eae86e6, v33
	v_add_f32_e32 v33, v38, v27
	v_add_f32_e32 v38, v2, v37
	;; [unrolled: 1-line block ×6, first 2 shown]
	v_fmac_f32_e32 v43, 0x3ee1c552, v3
	v_fmac_f32_e32 v6, 0x3ee1c552, v3
	;; [unrolled: 1-line block ×6, first 2 shown]
	v_sub_f32_e32 v2, v38, v43
	v_add_f32_e32 v47, v29, v27
	v_sub_f32_e32 v3, v37, v17
	v_sub_f32_e32 v50, v40, v7
	v_add_f32_e32 v4, v6, v41
	v_add_f32_e32 v46, v7, v40
	v_sub_f32_e32 v5, v41, v6
	v_sub_f32_e32 v48, v27, v29
	v_add_f32_e32 v6, v17, v37
	v_add_f32_e32 v7, v43, v38
	;; [unrolled: 1-line block ×7, first 2 shown]
	v_sub_f32_e32 v49, v33, v44
	v_sub_f32_e32 v29, v67, v61
	v_sub_f32_e32 v32, v141, v32
	v_sub_f32_e32 v24, v24, v146
	v_add_f32_e32 v39, v142, v144
	v_add_f32_e32 v40, v143, v145
	v_sub_f32_e32 v41, v144, v142
	v_sub_f32_e32 v42, v145, v143
	v_add_f32_e32 v43, v37, v17
	v_add_f32_e32 v44, v38, v27
	v_sub_f32_e32 v33, v140, v147
	v_sub_f32_e32 v51, v37, v17
	;; [unrolled: 1-line block ×7, first 2 shown]
	v_add_f32_e32 v17, v41, v32
	v_add_f32_e32 v27, v42, v24
	v_sub_f32_e32 v67, v41, v32
	v_sub_f32_e32 v82, v42, v24
	;; [unrolled: 1-line block ×3, first 2 shown]
	v_add_f32_e32 v39, v39, v43
	v_add_f32_e32 v40, v40, v44
	v_sub_f32_e32 v41, v29, v41
	v_sub_f32_e32 v42, v33, v42
	;; [unrolled: 1-line block ×3, first 2 shown]
	v_add_f32_e32 v29, v17, v29
	v_add_f32_e32 v33, v27, v33
	;; [unrolled: 1-line block ×4, first 2 shown]
	v_mul_f32_e32 v43, 0x3f4a47b2, v59
	v_mul_f32_e32 v44, 0x3f4a47b2, v61
	;; [unrolled: 1-line block ×8, first 2 shown]
	v_fmamk_f32 v39, v39, 0xbf955555, v27
	v_fmamk_f32 v40, v40, 0xbf955555, v17
	v_fma_f32 v59, v51, s12, -v59
	v_fma_f32 v61, v53, s12, -v61
	;; [unrolled: 1-line block ×3, first 2 shown]
	v_fmac_f32_e32 v43, 0x3d64c772, v37
	v_fma_f32 v37, v53, s3, -v44
	v_fmac_f32_e32 v44, 0x3d64c772, v38
	v_fma_f32 v32, v32, s2, -v67
	;; [unrolled: 2-line block ×3, first 2 shown]
	v_fma_f32 v53, v41, s1, -v83
	v_fmac_f32_e32 v82, 0x3eae86e6, v42
	v_fma_f32 v83, v42, s1, -v86
	v_add_f32_e32 v86, v43, v39
	v_add_f32_e32 v87, v44, v40
	;; [unrolled: 1-line block ×5, first 2 shown]
	v_fmac_f32_e32 v67, 0x3ee1c552, v29
	v_fmac_f32_e32 v24, 0x3ee1c552, v33
	;; [unrolled: 1-line block ×3, first 2 shown]
	v_add_f32_e32 v44, v61, v40
	v_fmac_f32_e32 v82, 0x3ee1c552, v33
	v_fmac_f32_e32 v32, 0x3ee1c552, v29
	;; [unrolled: 1-line block ×3, first 2 shown]
	v_sub_f32_e32 v33, v87, v67
	v_sub_f32_e32 v41, v51, v53
	;; [unrolled: 1-line block ×3, first 2 shown]
	v_add_f32_e32 v37, v24, v43
	v_add_f32_e32 v51, v53, v51
	;; [unrolled: 1-line block ×10, first 2 shown]
	v_sub_f32_e32 v43, v44, v32
	v_sub_f32_e32 v39, v39, v83
	;; [unrolled: 1-line block ×5, first 2 shown]
	v_add_f32_e32 v83, v151, v30
	v_add_f32_e32 v86, v152, v153
	v_sub_f32_e32 v30, v30, v151
	v_sub_f32_e32 v87, v153, v152
	v_add_f32_e32 v88, v53, v24
	v_add_f32_e32 v116, v67, v29
	v_sub_f32_e32 v26, v148, v26
	v_sub_f32_e32 v32, v149, v156
	;; [unrolled: 1-line block ×8, first 2 shown]
	v_add_f32_e32 v67, v30, v34
	v_add_f32_e32 v122, v87, v82
	v_sub_f32_e32 v125, v87, v82
	v_add_f32_e32 v83, v83, v88
	v_add_f32_e32 v86, v86, v116
	v_sub_f32_e32 v124, v30, v34
	v_sub_f32_e32 v30, v26, v30
	;; [unrolled: 1-line block ×5, first 2 shown]
	v_add_f32_e32 v88, v67, v26
	v_add_f32_e32 v32, v122, v32
	;; [unrolled: 1-line block ×4, first 2 shown]
	v_mul_f32_e32 v24, 0x3f4a47b2, v24
	v_mul_f32_e32 v29, 0x3f4a47b2, v29
	;; [unrolled: 1-line block ×8, first 2 shown]
	v_fmamk_f32 v83, v83, 0xbf955555, v26
	v_fmamk_f32 v86, v86, 0xbf955555, v67
	v_fma_f32 v85, v118, s12, -v85
	v_fma_f32 v118, v118, s3, -v24
	v_fmac_f32_e32 v24, 0x3d64c772, v53
	v_fma_f32 v53, v119, s3, -v29
	v_fmac_f32_e32 v29, 0x3d64c772, v120
	v_fma_f32 v120, v82, s2, -v122
	v_fma_f32 v115, v119, s12, -v115
	;; [unrolled: 1-line block ×3, first 2 shown]
	v_fmac_f32_e32 v116, 0x3eae86e6, v30
	v_fmac_f32_e32 v122, 0x3eae86e6, v87
	v_fma_f32 v124, v30, s1, -v124
	v_fma_f32 v87, v87, s1, -v125
	v_add_f32_e32 v125, v29, v86
	v_add_f32_e32 v29, v85, v83
	v_fmac_f32_e32 v120, 0x3ee1c552, v32
	v_add_f32_e32 v24, v24, v83
	v_add_f32_e32 v115, v115, v86
	;; [unrolled: 1-line block ×4, first 2 shown]
	v_fmac_f32_e32 v116, 0x3ee1c552, v88
	v_fmac_f32_e32 v122, 0x3ee1c552, v32
	;; [unrolled: 1-line block ×5, first 2 shown]
	v_sub_f32_e32 v34, v29, v120
	v_add_f32_e32 v29, v120, v29
	v_lshl_add_u32 v120, v19, 2, 0
	v_add_f32_e32 v53, v122, v24
	v_sub_f32_e32 v82, v125, v116
	v_add_f32_e32 v30, v87, v118
	v_sub_f32_e32 v83, v126, v124
	;; [unrolled: 2-line block ×3, first 2 shown]
	v_sub_f32_e32 v32, v118, v87
	v_add_f32_e32 v87, v124, v126
	v_sub_f32_e32 v24, v24, v122
	v_add_f32_e32 v88, v116, v125
	v_add_u32_e32 v126, 0x600, v174
	v_add_u32_e32 v125, 0x800, v120
	;; [unrolled: 1-line block ×9, first 2 shown]
	ds_write2_b32 v174, v25, v81 offset1:49
	ds_write2_b32 v174, v72, v76 offset0:98 offset1:147
	ds_write2_b32 v174, v71, v74 offset0:196 offset1:245
	;; [unrolled: 1-line block ×9, first 2 shown]
	ds_write_b32 v120, v64 offset:3920
	ds_write2_b32 v116, v36, v77 offset0:5 offset1:54
	ds_write2_b32 v116, v54, v56 offset0:103 offset1:152
	ds_write2_b32 v116, v52, v55 offset0:201 offset1:250
	ds_write_b32 v15, v57 offset:5292
	ds_write2_b32 v19, v28, v69 offset0:92 offset1:141
	ds_write2_b32 v19, v47, v50 offset0:190 offset1:239
	ds_write2_b32 v115, v46, v48 offset0:32 offset1:81
	;; [unrolled: 4-line block ×4, first 2 shown]
	ds_write_b32 v16, v24 offset:9408
	s_waitcnt lgkmcnt(0)
	; wave barrier
	s_waitcnt lgkmcnt(0)
	ds_read_b32 v30, v174
	ds_read2_b32 v[24:25], v169 offset0:87 offset1:136
	ds_read2_b32 v[44:45], v170 offset0:125 offset1:174
	;; [unrolled: 1-line block ×6, first 2 shown]
	ds_read_b32 v40, v179
	ds_read2_b32 v[38:39], v172 offset0:95 offset1:144
	ds_read2_b32 v[34:35], v171 offset0:141 offset1:190
	ds_read2_b32 v[36:37], v160 offset0:59 offset1:108
	ds_read_b32 v32, v178
	ds_read2_b32 v[76:77], v169 offset0:185 offset1:234
	ds_read2_b32 v[78:79], v164 offset0:103 offset1:152
	ds_read2_b32 v[80:81], v168 offset0:21 offset1:70
	;; [unrolled: 4-line block ×5, first 2 shown]
	ds_read_b32 v50, v84
	s_waitcnt lgkmcnt(0)
	; wave barrier
	s_waitcnt lgkmcnt(0)
	ds_write2_b32 v174, v75, v102 offset1:49
	ds_write2_b32 v174, v104, v105 offset0:98 offset1:147
	ds_write2_b32 v174, v106, v107 offset0:196 offset1:245
	;; [unrolled: 1-line block ×9, first 2 shown]
	ds_write_b32 v120, v98 offset:3920
	ds_write2_b32 v116, v10, v31 offset0:5 offset1:54
	ds_write2_b32 v116, v18, v21 offset0:103 offset1:152
	ds_write2_b32 v116, v20, v22 offset0:201 offset1:250
	ds_write_b32 v15, v0 offset:5292
	ds_write2_b32 v19, v1, v2 offset0:92 offset1:141
	ds_write2_b32 v19, v3, v4 offset0:190 offset1:239
	ds_write2_b32 v115, v5, v6 offset0:32 offset1:81
	ds_write_b32 v11, v7 offset:6664
	ds_write2_b32 v118, v17, v33 offset0:179 offset1:228
	ds_write2_b32 v119, v41, v42 offset0:21 offset1:70
	ds_write2_b32 v119, v43, v51 offset0:119 offset1:168
	ds_write_b32 v23, v59 offset:8036
	ds_write2_b32 v122, v67, v82 offset0:10 offset1:59
	ds_write2_b32 v122, v83, v85 offset0:108 offset1:157
	ds_write2_b32 v122, v86, v87 offset0:206 offset1:255
	ds_write_b32 v16, v88 offset:9408
	s_waitcnt lgkmcnt(0)
	; wave barrier
	s_waitcnt lgkmcnt(0)
	s_and_saveexec_b64 s[20:21], vcc
	s_cbranch_execz .LBB0_15
; %bb.14:
	v_mov_b32_e32 v15, 0
	v_lshl_add_u64 v[0:1], s[4:5], 0, v[14:15]
	global_load_dwordx4 v[16:19], v[0:1], off offset:2688
	global_load_dwordx4 v[20:23], v[0:1], off offset:2704
	;; [unrolled: 1-line block ×3, first 2 shown]
	v_mul_lo_u32 v2, s15, v8
	v_mul_lo_u32 v3, s14, v9
	v_mad_u64_u32 v[0:1], s[14:15], s14, v8, 0
	s_mov_b32 s1, 0xbf112a8b
	v_mul_i32_i24_e32 v14, 6, v165
	v_add3_u32 v1, v1, v3, v2
	v_mul_hi_u32 v2, v161, s1
	v_lshl_add_u64 v[42:43], v[14:15], 3, s[4:5]
	v_mul_i32_i24_e32 v14, 6, v123
	v_lshrrev_b32_e32 v31, 8, v2
	ds_read2_b32 v[82:83], v170 offset0:125 offset1:174
	ds_read2_b32 v[84:85], v171 offset0:43 offset1:92
	;; [unrolled: 1-line block ×6, first 2 shown]
	v_lshl_add_u64 v[88:89], v[0:1], 3, s[10:11]
	global_load_dwordx4 v[0:3], v[42:43], off offset:2688
	global_load_dwordx4 v[4:7], v[42:43], off offset:2704
	;; [unrolled: 1-line block ×3, first 2 shown]
	v_lshl_add_u64 v[42:43], v[14:15], 3, s[4:5]
	v_mul_i32_i24_e32 v14, 6, v121
	v_mul_u32_u24_e32 v31, 0x157, v31
	v_lshl_add_u64 v[106:107], v[14:15], 3, s[4:5]
	v_mul_i32_i24_e32 v14, 6, v109
	v_sub_u32_e32 v149, v161, v31
	v_mul_i32_i24_e32 v75, 0xffffffe8, v109
	v_lshl_add_u64 v[108:109], v[14:15], 3, s[4:5]
	v_mul_i32_i24_e32 v14, 6, v117
	v_mad_u64_u32 v[100:101], s[10:11], s16, v149, 0
	v_add_u32_e32 v31, 0x157, v149
	v_mul_i32_i24_e32 v148, 0xffffffe8, v103
	v_mul_i32_i24_e32 v33, 0xffffffe8, v117
	v_add_u32_e32 v41, 0x2ae, v149
	v_lshl_add_u64 v[116:117], v[14:15], 3, s[4:5]
	v_mul_i32_i24_e32 v14, 6, v103
	v_mov_b32_e32 v98, v101
	v_mad_u64_u32 v[102:103], s[10:11], s16, v31, 0
	v_mul_i32_i24_e32 v67, 0xffffffe8, v121
	v_mad_u64_u32 v[118:119], s[10:11], s16, v41, 0
	v_lshl_add_u64 v[120:121], v[14:15], 3, s[4:5]
	v_mad_u64_u32 v[14:15], s[4:5], s17, v149, v[98:99]
	v_mov_b32_e32 v98, v103
	v_lshl_add_u64 v[88:89], v[12:13], 3, v[88:89]
	s_waitcnt lgkmcnt(0)
	v_mov_b32_e32 v12, v90
	v_mov_b32_e32 v13, v110
	;; [unrolled: 1-line block ×4, first 2 shown]
	v_mad_u64_u32 v[14:15], s[4:5], s17, v31, v[98:99]
	v_mul_i32_i24_e32 v59, 0xffffffe8, v123
	v_mov_b32_e32 v96, v28
	v_mov_b32_e32 v97, v26
	v_mad_u64_u32 v[122:123], s[4:5], s17, v41, v[122:123]
	v_mov_b32_e32 v103, v14
	v_mov_b32_e32 v136, v83
	;; [unrolled: 1-line block ×5, first 2 shown]
	v_lshl_add_u64 v[100:101], v[100:101], 3, v[88:89]
	s_mov_b32 s14, s19
	s_mov_b32 s9, s18
	;; [unrolled: 1-line block ×6, first 2 shown]
	v_mul_i32_i24_e32 v51, 0xffffffe8, v165
	v_lshl_add_u64 v[102:103], v[102:103], 3, v[88:89]
	v_add_u32_e32 v33, v166, v33
	s_waitcnt vmcnt(5)
	v_mov_b32_e32 v134, v19
	s_waitcnt vmcnt(4)
	v_mov_b32_e32 v125, v20
	;; [unrolled: 2-line block ×3, first 2 shown]
	v_mov_b32_e32 v15, v21
	v_mul_f32_e32 v126, v112, v90
	v_mov_b32_e32 v14, v112
	v_pk_mul_f32 v[12:13], v[124:125], v[12:13]
	v_mov_b32_e32 v135, v22
	v_mul_f32_e32 v122, v18, v83
	v_mul_f32_e32 v41, v115, v87
	v_fmac_f32_e32 v126, v28, v113
	v_pk_fma_f32 v[112:113], v[28:29], v[112:113], v[12:13] neg_lo:[0,0,1] neg_hi:[0,0,1]
	v_pk_fma_f32 v[96:97], v[96:97], v[14:15], v[12:13]
	v_mov_b32_e32 v12, v45
	v_mov_b32_e32 v13, v47
	;; [unrolled: 1-line block ×4, first 2 shown]
	v_pk_mul_f32 v[134:135], v[134:135], v[136:137]
	v_fmac_f32_e32 v122, v45, v19
	v_fma_f32 v131, v49, v114, -v41
	v_pk_fma_f32 v[18:19], v[92:93], v[18:19], v[134:135] neg_lo:[0,0,1] neg_hi:[0,0,1]
	v_pk_fma_f32 v[134:135], v[12:13], v[14:15], v[134:135]
	v_mov_b32_e32 v15, v115
	v_mov_b32_e32 v138, v21
	;; [unrolled: 1-line block ×5, first 2 shown]
	v_mul_f32_e32 v31, v17, v104
	v_mov_b32_e32 v12, v26
	v_mov_b32_e32 v13, v49
	;; [unrolled: 1-line block ×3, first 2 shown]
	v_pk_mul_f32 v[114:115], v[138:139], v[114:115]
	v_fma_f32 v129, v24, v16, -v31
	v_pk_fma_f32 v[138:139], v[26:27], v[20:21], v[114:115] neg_lo:[0,0,1] neg_hi:[0,0,1]
	v_pk_fma_f32 v[114:115], v[12:13], v[14:15], v[114:115]
	v_mov_b32_e32 v15, v17
	v_mov_b32_e32 v20, v23
	;; [unrolled: 1-line block ×8, first 2 shown]
	v_pk_mul_f32 v[16:17], v[20:21], v[16:17]
	v_mov_b32_e32 v113, v97
	v_pk_fma_f32 v[20:21], v[12:13], v[14:15], v[16:17] neg_lo:[0,0,1] neg_hi:[0,0,1]
	v_pk_fma_f32 v[140:141], v[12:13], v[14:15], v[16:17]
	v_mov_b32_e32 v19, v135
	v_mov_b32_e32 v139, v115
	;; [unrolled: 1-line block ×3, first 2 shown]
	v_add_f32_e32 v125, v122, v126
	v_add_f32_e32 v132, v129, v131
	v_pk_add_f32 v[136:137], v[18:19], v[112:113] neg_lo:[0,1] neg_hi:[0,1]
	v_pk_add_f32 v[142:143], v[20:21], v[138:139]
	v_pk_add_f32 v[112:113], v[18:19], v[112:113]
	v_add_f32_e32 v13, v143, v125
	v_add_f32_e32 v14, v132, v112
	v_mov_b32_e32 v15, v113
	v_mov_b32_e32 v12, v142
	v_pk_add_f32 v[144:145], v[14:15], v[12:13]
	global_load_dwordx4 v[12:15], v[120:121], off offset:2704
	global_load_dwordx4 v[16:19], v[120:121], off offset:2688
	v_mov_b32_e32 v123, v20
	global_load_dwordx4 v[20:23], v[120:121], off offset:2720
	ds_read_b32 v31, v174
	v_mov_b32_e32 v114, v115
	v_mov_b32_e32 v115, v138
	;; [unrolled: 1-line block ×6, first 2 shown]
	v_pk_add_f32 v[122:123], v[122:123], v[126:127] neg_lo:[0,1] neg_hi:[0,1]
	v_pk_add_f32 v[114:115], v[24:25], v[114:115] neg_lo:[0,1] neg_hi:[0,1]
	;; [unrolled: 1-line block ×3, first 2 shown]
	v_mov_b32_e32 v133, v113
	v_mov_b32_e32 v124, v142
	;; [unrolled: 1-line block ×3, first 2 shown]
	s_waitcnt lgkmcnt(0)
	v_pk_add_f32 v[30:31], v[30:31], v[144:145]
	v_mov_b32_e32 v96, v114
	v_mov_b32_e32 v97, v123
	;; [unrolled: 1-line block ×4, first 2 shown]
	v_pk_add_f32 v[120:121], v[132:133], v[124:125] neg_lo:[0,1] neg_hi:[0,1]
	v_pk_add_f32 v[138:139], v[122:123], v[40:41]
	v_pk_fma_f32 v[140:141], v[144:145], s[14:15], v[30:31] op_sel_hi:[1,0,1] neg_lo:[1,0,0] neg_hi:[1,0,0]
	v_pk_add_f32 v[96:97], v[96:97], v[130:131] neg_lo:[0,1] neg_hi:[0,1]
	global_store_dwordx2 v[100:101], v[30:31], off
	v_pk_add_f32 v[30:31], v[128:129], v[122:123]
	v_pk_mul_f32 v[120:121], v[120:121], s[8:9]
	v_pk_add_f32 v[126:127], v[142:143], v[112:113] neg_lo:[0,1] neg_hi:[0,1]
	v_mov_b32_e32 v115, v139
	v_pk_mul_f32 v[130:131], v[96:97], s[6:7]
	v_pk_add_f32 v[134:135], v[128:129], v[122:123] neg_lo:[0,1] neg_hi:[0,1]
	v_mov_b32_e32 v31, v129
	v_pk_fma_f32 v[138:139], v[126:127], s[10:11], v[120:121]
	v_pk_fma_f32 v[96:97], v[134:135], s[4:5], v[130:131]
	v_pk_add_f32 v[30:31], v[30:31], v[114:115]
	v_add_u32_e32 v26, 0x405, v149
	v_pk_add_f32 v[138:139], v[138:139], v[140:141]
	v_pk_fma_f32 v[96:97], v[30:31], s[0:1], v[96:97] op_sel_hi:[1,0,1]
	v_mad_u64_u32 v[146:147], s[18:19], s16, v26, 0
	v_pk_add_f32 v[144:145], v[138:139], v[96:97] neg_lo:[0,1] neg_hi:[0,1]
	v_pk_add_f32 v[138:139], v[138:139], v[96:97]
	v_mov_b32_e32 v97, v145
	v_mov_b32_e32 v96, v138
	;; [unrolled: 1-line block ×5, first 2 shown]
	global_store_dwordx2 v[102:103], v[96:97], off
	v_mad_u64_u32 v[96:97], s[18:19], s17, v26, v[24:25]
	v_add_u32_e32 v26, v93, v51
	v_lshl_add_u64 v[92:93], v[118:119], 3, v[88:89]
	v_pk_add_f32 v[118:119], v[112:113], v[132:133] neg_lo:[0,1] neg_hi:[0,1]
	v_pk_mul_f32 v[124:125], v[126:127], s[10:11]
	v_pk_mul_f32 v[112:113], v[134:135], s[4:5]
	v_mov_b32_e32 v123, v136
	v_mov_b32_e32 v115, v129
	ds_read2_b32 v[100:101], v173 offset0:127 offset1:176
	v_mov_b32_e32 v147, v96
	ds_read2_b32 v[96:97], v94 offset0:81 offset1:130
	v_mov_b32_e32 v94, v120
	v_mov_b32_e32 v95, v125
	v_pk_add_f32 v[114:115], v[122:123], v[114:115] neg_lo:[0,1] neg_hi:[0,1]
	v_mov_b32_e32 v122, v130
	v_mov_b32_e32 v123, v113
	v_pk_fma_f32 v[94:95], v[118:119], s[12:13], v[94:95] op_sel_hi:[1,0,1] neg_lo:[1,0,1] neg_hi:[1,0,1]
	v_pk_fma_f32 v[122:123], v[114:115], s[2:3], v[122:123] op_sel_hi:[1,0,1] neg_lo:[1,0,1] neg_hi:[1,0,1]
	v_pk_add_f32 v[94:95], v[94:95], v[140:141]
	v_pk_fma_f32 v[122:123], v[30:31], s[0:1], v[122:123] op_sel_hi:[1,0,1]
	v_mov_b32_e32 v113, v131
	v_mov_b32_e32 v125, v121
	v_pk_add_f32 v[126:127], v[94:95], v[122:123] neg_lo:[0,1] neg_hi:[0,1]
	v_pk_add_f32 v[94:95], v[94:95], v[122:123]
	v_pk_fma_f32 v[112:113], v[114:115], s[2:3], v[112:113] op_sel_hi:[1,0,1] neg_lo:[0,0,1] neg_hi:[0,0,1]
	v_pk_fma_f32 v[118:119], v[118:119], s[12:13], v[124:125] op_sel_hi:[1,0,1] neg_lo:[0,0,1] neg_hi:[0,0,1]
	s_waitcnt vmcnt(7)
	v_mul_f32_e32 v24, v1, v82
	v_add_u32_e32 v28, 0x55c, v149
	v_mov_b32_e32 v122, v94
	v_mov_b32_e32 v123, v127
	v_pk_fma_f32 v[30:31], v[30:31], s[0:1], v[112:113] op_sel_hi:[1,0,1]
	v_pk_add_f32 v[118:119], v[118:119], v[140:141]
	v_fma_f32 v45, v44, v0, -v24
	s_waitcnt vmcnt(5) lgkmcnt(1)
	v_mul_f32_e32 v24, v11, v101
	global_store_dwordx2 v[92:93], v[122:123], off
	v_mad_u64_u32 v[128:129], s[18:19], s16, v28, 0
	v_pk_add_f32 v[130:131], v[118:119], v[30:31]
	v_pk_add_f32 v[30:31], v[118:119], v[30:31] neg_lo:[0,1] neg_hi:[0,1]
	v_fma_f32 v83, v55, v10, -v24
	ds_read2_b32 v[102:103], v162 offset0:163 offset1:212
	v_mov_b32_e32 v24, v129
	ds_read_b32 v51, v26
	ds_read2_b32 v[114:115], v160 offset0:59 offset1:108
	ds_read2_b32 v[112:113], v171 offset0:141 offset1:190
	v_lshl_add_u64 v[124:125], v[146:147], 3, v[88:89]
	v_add_u32_e32 v26, 0x6b3, v149
	v_mov_b32_e32 v118, v30
	v_mov_b32_e32 v119, v131
	v_mad_u64_u32 v[92:93], s[18:19], s17, v28, v[24:25]
	s_waitcnt vmcnt(4)
	v_mul_f32_e32 v24, v17, v105
	global_store_dwordx2 v[124:125], v[118:119], off
	v_mad_u64_u32 v[118:119], s[18:19], s16, v26, 0
	v_mov_b32_e32 v129, v92
	v_fma_f32 v121, v25, v16, -v24
	v_mov_b32_e32 v24, v119
	v_mad_u64_u32 v[124:125], s[18:19], s17, v26, v[24:25]
	v_mov_b32_e32 v131, v31
	v_lshl_add_u64 v[30:31], v[128:129], 3, v[88:89]
	v_add_u32_e32 v26, 0x80a, v149
	s_waitcnt vmcnt(4) lgkmcnt(1)
	v_mul_f32_e32 v24, v23, v114
	global_store_dwordx2 v[30:31], v[130:131], off
	v_mad_u64_u32 v[30:31], s[18:19], s16, v26, 0
	v_fma_f32 v125, v36, v22, -v24
	v_mov_b32_e32 v24, v31
	v_mad_u64_u32 v[128:129], s[18:19], s17, v26, v[24:25]
	v_add_u32_e32 v24, 49, v161
	v_mul_hi_u32 v26, v24, s1
	v_lshrrev_b32_e32 v26, 8, v26
	v_mul_u32_u24_e32 v28, 0x157, v26
	v_mov_b32_e32 v119, v124
	v_sub_u32_e32 v24, v24, v28
	s_movk_i32 s3, 0x961
	v_lshl_add_u64 v[118:119], v[118:119], 3, v[88:89]
	v_mov_b32_e32 v127, v95
	v_mad_u32_u24 v47, v26, s3, v24
	v_mov_b32_e32 v31, v128
	global_store_dwordx2 v[118:119], v[126:127], off
	v_mad_u64_u32 v[118:119], s[18:19], s16, v47, 0
	v_add_u32_e32 v26, 0x157, v47
	v_lshl_add_u64 v[30:31], v[30:31], 3, v[88:89]
	v_mov_b32_e32 v145, v139
	v_mov_b32_e32 v24, v119
	v_mad_u64_u32 v[126:127], s[18:19], s16, v26, 0
	global_store_dwordx2 v[30:31], v[144:145], off
	v_mad_u64_u32 v[30:31], s[18:19], s17, v47, v[24:25]
	v_mov_b32_e32 v24, v127
	v_mov_b32_e32 v119, v30
	v_mad_u64_u32 v[30:31], s[18:19], s17, v26, v[24:25]
	v_add_u32_e32 v26, 0x2ae, v47
	ds_read2_b32 v[122:123], v172 offset0:95 offset1:144
	v_mad_u64_u32 v[138:139], s[18:19], s16, v26, 0
	v_mov_b32_e32 v24, v139
	v_mov_b32_e32 v127, v30
	v_mad_u64_u32 v[30:31], s[18:19], s17, v26, v[24:25]
	v_mul_f32_e32 v132, v20, v91
	v_mov_b32_e32 v139, v30
	v_mov_b32_e32 v30, v21
	;; [unrolled: 1-line block ×4, first 2 shown]
	v_fmac_f32_e32 v132, v29, v21
	v_mov_b32_e32 v24, v29
	v_mov_b32_e32 v26, v29
	v_mov_b32_e32 v28, v20
	v_mov_b32_e32 v29, v13
	v_pk_mul_f32 v[30:31], v[30:31], v[110:111]
	s_waitcnt lgkmcnt(0)
	v_mul_f32_e32 v134, v18, v122
	v_pk_fma_f32 v[20:21], v[24:25], v[20:21], v[30:31] neg_lo:[0,0,1] neg_hi:[0,0,1]
	v_pk_fma_f32 v[140:141], v[26:27], v[28:29], v[30:31]
	v_mov_b32_e32 v30, v19
	v_mov_b32_e32 v31, v14
	;; [unrolled: 1-line block ×4, first 2 shown]
	v_fmac_f32_e32 v134, v38, v19
	v_mov_b32_e32 v28, v38
	v_mov_b32_e32 v29, v34
	v_pk_mul_f32 v[30:31], v[30:31], v[128:129]
	v_mov_b32_e32 v128, v18
	v_mov_b32_e32 v129, v15
	;; [unrolled: 1-line block ×3, first 2 shown]
	v_pk_fma_f32 v[142:143], v[28:29], v[128:129], v[30:31]
	v_mov_b32_e32 v23, v22
	v_pk_fma_f32 v[28:29], v[38:39], v[18:19], v[30:31] neg_lo:[0,0,1] neg_hi:[0,0,1]
	v_mov_b32_e32 v22, v13
	v_mov_b32_e32 v30, v111
	;; [unrolled: 1-line block ×3, first 2 shown]
	v_pk_mul_f32 v[22:23], v[22:23], v[30:31]
	v_mov_b32_e32 v30, v27
	v_mov_b32_e32 v31, v36
	;; [unrolled: 1-line block ×3, first 2 shown]
	v_pk_fma_f32 v[18:19], v[30:31], v[18:19], v[22:23]
	v_mov_b32_e32 v104, v112
	v_mov_b32_e32 v18, v27
	v_pk_fma_f32 v[12:13], v[18:19], v[12:13], v[22:23] neg_lo:[0,0,1] neg_hi:[0,0,1]
	v_mov_b32_e32 v22, v14
	v_mov_b32_e32 v14, v15
	;; [unrolled: 1-line block ×5, first 2 shown]
	v_pk_mul_f32 v[14:15], v[14:15], v[104:105]
	v_mov_b32_e32 v21, v141
	v_pk_fma_f32 v[16:17], v[24:25], v[22:23], v[14:15] neg_lo:[0,0,1] neg_hi:[0,0,1]
	v_pk_fma_f32 v[14:15], v[24:25], v[22:23], v[14:15]
	v_mov_b32_e32 v29, v143
	v_mov_b32_e32 v13, v19
	;; [unrolled: 1-line block ×3, first 2 shown]
	v_add_f32_e32 v137, v134, v132
	v_add_f32_e32 v110, v121, v125
	v_pk_add_f32 v[144:145], v[28:29], v[20:21] neg_lo:[0,1] neg_hi:[0,1]
	v_pk_add_f32 v[22:23], v[16:17], v[12:13]
	v_pk_add_f32 v[20:21], v[28:29], v[20:21]
	v_add_f32_e32 v25, v23, v137
	v_add_f32_e32 v26, v110, v20
	v_mov_b32_e32 v27, v21
	v_mov_b32_e32 v24, v22
	v_pk_add_f32 v[104:105], v[26:27], v[24:25]
	global_load_dwordx4 v[24:27], v[116:117], off offset:2704
	global_load_dwordx4 v[28:31], v[116:117], off offset:2688
	;; [unrolled: 1-line block ×3, first 2 shown]
	v_add_u32_e32 v41, v167, v148
	ds_read_b32 v41, v41
	v_mov_b32_e32 v111, v21
	v_mov_b32_e32 v136, v22
	;; [unrolled: 1-line block ×4, first 2 shown]
	v_pk_add_f32 v[12:13], v[110:111], v[136:137] neg_lo:[0,1] neg_hi:[0,1]
	v_mov_b32_e32 v135, v16
	v_pk_mul_f32 v[146:147], v[12:13], s[8:9]
	v_mov_b32_e32 v133, v19
	v_mov_b32_e32 v12, v15
	s_waitcnt lgkmcnt(0)
	v_pk_add_f32 v[14:15], v[40:41], v[104:105]
	v_mov_b32_e32 v120, v143
	v_mov_b32_e32 v124, v141
	v_lshl_add_u64 v[16:17], v[118:119], 3, v[88:89]
	v_pk_add_f32 v[118:119], v[134:135], v[132:133] neg_lo:[0,1] neg_hi:[0,1]
	v_pk_add_f32 v[132:133], v[12:13], v[18:19] neg_lo:[0,1] neg_hi:[0,1]
	v_pk_fma_f32 v[40:41], v[104:105], s[14:15], v[14:15] op_sel_hi:[1,0,1] neg_lo:[1,0,0] neg_hi:[1,0,0]
	v_pk_add_f32 v[104:105], v[120:121], v[124:125] neg_lo:[0,1] neg_hi:[0,1]
	v_mov_b32_e32 v13, v144
	v_mov_b32_e32 v18, v132
	;; [unrolled: 1-line block ×5, first 2 shown]
	v_pk_add_f32 v[12:13], v[118:119], v[12:13]
	v_pk_add_f32 v[18:19], v[18:19], v[120:121] neg_lo:[0,1] neg_hi:[0,1]
	global_store_dwordx2 v[16:17], v[14:15], off
	v_pk_add_f32 v[14:15], v[104:105], v[118:119]
	v_lshl_add_u64 v[116:117], v[126:127], 3, v[88:89]
	v_pk_add_f32 v[126:127], v[22:23], v[20:21] neg_lo:[0,1] neg_hi:[0,1]
	v_mov_b32_e32 v133, v13
	v_pk_mul_f32 v[120:121], v[18:19], s[6:7]
	v_pk_add_f32 v[124:125], v[104:105], v[118:119] neg_lo:[0,1] neg_hi:[0,1]
	v_mov_b32_e32 v15, v105
	v_pk_fma_f32 v[12:13], v[126:127], s[10:11], v[146:147]
	v_pk_fma_f32 v[18:19], v[124:125], s[4:5], v[120:121]
	v_pk_add_f32 v[134:135], v[14:15], v[132:133]
	v_pk_add_f32 v[12:13], v[12:13], v[40:41]
	v_pk_fma_f32 v[14:15], v[134:135], s[0:1], v[18:19] op_sel_hi:[1,0,1]
	v_mov_b32_e32 v21, v137
	v_pk_add_f32 v[140:141], v[12:13], v[14:15] neg_lo:[0,1] neg_hi:[0,1]
	v_pk_add_f32 v[142:143], v[12:13], v[14:15]
	v_mov_b32_e32 v111, v23
	v_pk_mul_f32 v[136:137], v[126:127], s[10:11]
	v_pk_mul_f32 v[124:125], v[124:125], s[4:5]
	v_mov_b32_e32 v119, v144
	v_mov_b32_e32 v133, v105
	v_add_u32_e32 v34, 0x405, v47
	v_mov_b32_e32 v12, v142
	v_mov_b32_e32 v13, v141
	v_pk_add_f32 v[110:111], v[20:21], v[110:111] neg_lo:[0,1] neg_hi:[0,1]
	v_mov_b32_e32 v22, v146
	v_mov_b32_e32 v23, v137
	v_pk_add_f32 v[126:127], v[118:119], v[132:133] neg_lo:[0,1] neg_hi:[0,1]
	v_mov_b32_e32 v104, v120
	v_mov_b32_e32 v105, v125
	global_store_dwordx2 v[116:117], v[12:13], off
	v_mad_u64_u32 v[116:117], s[18:19], s16, v34, 0
	v_pk_fma_f32 v[22:23], v[110:111], s[12:13], v[22:23] op_sel_hi:[1,0,1] neg_lo:[1,0,1] neg_hi:[1,0,1]
	v_pk_fma_f32 v[104:105], v[126:127], s[2:3], v[104:105] op_sel_hi:[1,0,1] neg_lo:[1,0,1] neg_hi:[1,0,1]
	v_mov_b32_e32 v12, v117
	v_pk_add_f32 v[22:23], v[22:23], v[40:41]
	v_pk_fma_f32 v[104:105], v[134:135], s[0:1], v[104:105] op_sel_hi:[1,0,1]
	v_mad_u64_u32 v[12:13], s[18:19], s17, v34, v[12:13]
	v_lshl_add_u64 v[20:21], v[138:139], 3, v[88:89]
	v_add_u32_e32 v34, 0x55c, v47
	v_pk_add_f32 v[132:133], v[22:23], v[104:105] neg_lo:[0,1] neg_hi:[0,1]
	v_pk_add_f32 v[138:139], v[22:23], v[104:105]
	v_mov_b32_e32 v23, v133
	v_mov_b32_e32 v22, v138
	v_mad_u64_u32 v[144:145], s[18:19], s16, v34, 0
	v_mov_b32_e32 v117, v12
	global_load_dwordx4 v[12:15], v[42:43], off offset:2704
	global_load_dwordx4 v[16:19], v[42:43], off offset:2688
	ds_read2_b32 v[118:119], v169 offset0:185 offset1:234
	global_store_dwordx2 v[20:21], v[22:23], off
	v_mov_b32_e32 v20, v145
	v_mad_u64_u32 v[20:21], s[18:19], s17, v34, v[20:21]
	v_mov_b32_e32 v145, v20
	global_load_dwordx4 v[20:23], v[42:43], off offset:2720
	v_mov_b32_e32 v125, v121
	v_mov_b32_e32 v137, v147
	v_pk_fma_f32 v[42:43], v[126:127], s[2:3], v[124:125] op_sel_hi:[1,0,1] neg_lo:[0,0,1] neg_hi:[0,0,1]
	v_pk_fma_f32 v[110:111], v[110:111], s[12:13], v[136:137] op_sel_hi:[1,0,1] neg_lo:[0,0,1] neg_hi:[0,0,1]
	v_pk_fma_f32 v[42:43], v[134:135], s[0:1], v[42:43] op_sel_hi:[1,0,1]
	v_pk_add_f32 v[40:41], v[110:111], v[40:41]
	s_waitcnt vmcnt(7) lgkmcnt(0)
	v_mul_f32_e32 v34, v29, v118
	v_pk_add_f32 v[110:111], v[40:41], v[42:43]
	v_pk_add_f32 v[40:41], v[40:41], v[42:43] neg_lo:[0,1] neg_hi:[0,1]
	v_lshl_add_u64 v[116:117], v[116:117], 3, v[88:89]
	v_add_u32_e32 v36, 0x6b3, v47
	v_mov_b32_e32 v42, v40
	v_mov_b32_e32 v43, v111
	v_fma_f32 v125, v76, v28, -v34
	s_waitcnt vmcnt(6)
	v_mul_f32_e32 v34, v131, v115
	global_store_dwordx2 v[116:117], v[42:43], off
	v_mad_u64_u32 v[42:43], s[18:19], s16, v36, 0
	v_fma_f32 v135, v37, v130, -v34
	v_mov_b32_e32 v34, v43
	v_mad_u64_u32 v[116:117], s[18:19], s17, v36, v[34:35]
	v_mov_b32_e32 v111, v41
	v_lshl_add_u64 v[40:41], v[144:145], 3, v[88:89]
	v_add_u32_e32 v36, 0x80a, v47
	global_store_dwordx2 v[40:41], v[110:111], off
	v_mad_u64_u32 v[40:41], s[18:19], s16, v36, 0
	v_mov_b32_e32 v34, v41
	v_mad_u64_u32 v[110:111], s[18:19], s17, v36, v[34:35]
	v_add_u32_e32 v34, 0x62, v161
	v_mul_hi_u32 v36, v34, s1
	v_lshrrev_b32_e32 v36, 8, v36
	v_mul_u32_u24_e32 v38, 0x157, v36
	v_sub_u32_e32 v34, v34, v38
	v_mov_b32_e32 v43, v116
	v_mad_u32_u24 v47, v36, s3, v34
	v_lshl_add_u64 v[42:43], v[42:43], 3, v[88:89]
	v_mov_b32_e32 v41, v110
	v_mov_b32_e32 v133, v139
	v_mad_u64_u32 v[110:111], s[18:19], s16, v47, 0
	v_add_u32_e32 v36, 0x157, v47
	v_lshl_add_u64 v[40:41], v[40:41], 3, v[88:89]
	global_store_dwordx2 v[42:43], v[132:133], off
	v_mov_b32_e32 v141, v143
	v_mov_b32_e32 v34, v111
	v_mad_u64_u32 v[132:133], s[18:19], s16, v36, 0
	global_store_dwordx2 v[40:41], v[140:141], off
	v_mad_u64_u32 v[40:41], s[18:19], s17, v47, v[34:35]
	v_mov_b32_e32 v34, v133
	v_mov_b32_e32 v111, v40
	v_mad_u64_u32 v[40:41], s[18:19], s17, v36, v[34:35]
	v_add_u32_e32 v36, 0x2ae, v47
	ds_read2_b32 v[120:121], v164 offset0:103 offset1:152
	ds_read2_b32 v[126:127], v168 offset0:21 offset1:70
	v_mad_u64_u32 v[138:139], s[18:19], s16, v36, 0
	v_mov_b32_e32 v34, v139
	v_mov_b32_e32 v133, v40
	v_mad_u64_u32 v[40:41], s[18:19], s17, v36, v[34:35]
	v_add_u32_e32 v36, 0x405, v47
	v_mad_u64_u32 v[140:141], s[18:19], s16, v36, 0
	v_mov_b32_e32 v34, v141
	v_mov_b32_e32 v139, v40
	v_mad_u64_u32 v[40:41], s[18:19], s17, v36, v[34:35]
	v_mov_b32_e32 v42, v129
	v_mov_b32_e32 v43, v24
	s_waitcnt lgkmcnt(0)
	v_mov_b32_e32 v142, v126
	v_mov_b32_e32 v143, v120
	;; [unrolled: 1-line block ×5, first 2 shown]
	v_pk_mul_f32 v[42:43], v[42:43], v[142:143]
	v_mov_b32_e32 v142, v128
	v_mov_b32_e32 v143, v25
	v_mul_f32_e32 v116, v30, v123
	v_pk_fma_f32 v[142:143], v[40:41], v[142:143], v[42:43]
	v_pk_fma_f32 v[40:41], v[80:81], v[128:129], v[42:43] neg_lo:[0,0,1] neg_hi:[0,0,1]
	v_mov_b32_e32 v112, v123
	v_mov_b32_e32 v42, v31
	v_mov_b32_e32 v43, v26
	v_fmac_f32_e32 v116, v39, v31
	v_mov_b32_e32 v36, v39
	v_mov_b32_e32 v34, v39
	;; [unrolled: 1-line block ×4, first 2 shown]
	v_pk_mul_f32 v[42:43], v[42:43], v[112:113]
	v_mov_b32_e32 v114, v120
	v_pk_fma_f32 v[30:31], v[36:37], v[30:31], v[42:43] neg_lo:[0,0,1] neg_hi:[0,0,1]
	v_pk_fma_f32 v[144:145], v[34:35], v[38:39], v[42:43]
	v_mov_b32_e32 v43, v130
	v_mov_b32_e32 v42, v25
	;; [unrolled: 1-line block ×3, first 2 shown]
	v_pk_mul_f32 v[42:43], v[42:43], v[114:115]
	v_mov_b32_e32 v36, v78
	v_mov_b32_e32 v38, v24
	v_pk_fma_f32 v[114:115], v[36:37], v[38:39], v[42:43]
	v_mov_b32_e32 v38, v26
	v_mov_b32_e32 v39, v29
	v_mov_b32_e32 v26, v27
	v_mov_b32_e32 v27, v28
	v_mov_b32_e32 v28, v113
	v_mov_b32_e32 v29, v118
	v_mov_b32_e32 v36, v35
	v_mov_b32_e32 v37, v76
	v_pk_mul_f32 v[26:27], v[26:27], v[28:29]
	v_mul_f32_e32 v122, v128, v126
	v_pk_fma_f32 v[24:25], v[78:79], v[24:25], v[42:43] neg_lo:[0,0,1] neg_hi:[0,0,1]
	v_pk_fma_f32 v[28:29], v[36:37], v[38:39], v[26:27] neg_lo:[0,0,1] neg_hi:[0,0,1]
	v_pk_fma_f32 v[26:27], v[36:37], v[38:39], v[26:27]
	v_fmac_f32_e32 v122, v80, v129
	v_mov_b32_e32 v41, v143
	v_mov_b32_e32 v31, v145
	;; [unrolled: 1-line block ×4, first 2 shown]
	v_add_f32_e32 v137, v116, v122
	v_add_f32_e32 v34, v125, v135
	v_pk_add_f32 v[146:147], v[30:31], v[40:41] neg_lo:[0,1] neg_hi:[0,1]
	v_pk_add_f32 v[112:113], v[28:29], v[24:25]
	v_pk_add_f32 v[30:31], v[30:31], v[40:41]
	v_add_f32_e32 v37, v113, v137
	v_add_f32_e32 v38, v34, v30
	v_mov_b32_e32 v39, v31
	v_mov_b32_e32 v36, v112
	ds_read2_b32 v[104:105], v170 offset0:27 offset1:76
	v_pk_add_f32 v[148:149], v[38:39], v[36:37]
	global_load_dwordx4 v[40:43], v[108:109], off offset:2704
	global_load_dwordx4 v[36:39], v[108:109], off offset:2688
	;; [unrolled: 1-line block ×3, first 2 shown]
	ds_read_b32 v33, v33
	v_mov_b32_e32 v117, v28
	v_lshl_add_u64 v[28:29], v[110:111], 3, v[88:89]
	v_mov_b32_e32 v35, v31
	v_mov_b32_e32 v136, v112
	;; [unrolled: 1-line block ×4, first 2 shown]
	v_pk_add_f32 v[24:25], v[34:35], v[136:137] neg_lo:[0,1] neg_hi:[0,1]
	v_mov_b32_e32 v123, v111
	v_mov_b32_e32 v26, v27
	;; [unrolled: 1-line block ×4, first 2 shown]
	v_lshl_add_u64 v[108:109], v[132:133], 3, v[88:89]
	v_pk_mul_f32 v[132:133], v[24:25], s[8:9]
	v_pk_add_f32 v[24:25], v[116:117], v[122:123] neg_lo:[0,1] neg_hi:[0,1]
	v_pk_add_f32 v[26:27], v[26:27], v[110:111] neg_lo:[0,1] neg_hi:[0,1]
	;; [unrolled: 1-line block ×3, first 2 shown]
	v_mov_b32_e32 v27, v146
	s_waitcnt lgkmcnt(0)
	v_pk_add_f32 v[32:33], v[32:33], v[148:149]
	v_mov_b32_e32 v114, v26
	v_mov_b32_e32 v115, v25
	;; [unrolled: 1-line block ×4, first 2 shown]
	v_pk_add_f32 v[110:111], v[24:25], v[26:27]
	v_pk_add_f32 v[114:115], v[114:115], v[116:117] neg_lo:[0,1] neg_hi:[0,1]
	global_store_dwordx2 v[28:29], v[32:33], off
	v_pk_add_f32 v[28:29], v[124:125], v[24:25]
	v_pk_add_f32 v[122:123], v[112:113], v[30:31] neg_lo:[0,1] neg_hi:[0,1]
	v_mov_b32_e32 v27, v111
	v_pk_mul_f32 v[134:135], v[114:115], s[6:7]
	v_pk_add_f32 v[142:143], v[124:125], v[24:25] neg_lo:[0,1] neg_hi:[0,1]
	v_mov_b32_e32 v29, v125
	v_pk_fma_f32 v[110:111], v[122:123], s[10:11], v[132:133]
	v_pk_fma_f32 v[148:149], v[148:149], s[14:15], v[32:33] op_sel_hi:[1,0,1] neg_lo:[1,0,0] neg_hi:[1,0,0]
	v_pk_fma_f32 v[114:115], v[142:143], s[4:5], v[134:135]
	v_pk_add_f32 v[32:33], v[28:29], v[26:27]
	v_pk_add_f32 v[110:111], v[110:111], v[148:149]
	v_pk_fma_f32 v[28:29], v[32:33], s[0:1], v[114:115] op_sel_hi:[1,0,1]
	v_add_u32_e32 v49, 0x55c, v47
	v_pk_add_f32 v[144:145], v[110:111], v[28:29] neg_lo:[0,1] neg_hi:[0,1]
	v_pk_add_f32 v[150:151], v[110:111], v[28:29]
	v_mov_b32_e32 v29, v145
	v_mov_b32_e32 v28, v150
	v_mad_u64_u32 v[152:153], s[18:19], s16, v49, 0
	s_waitcnt vmcnt(10)
	v_mul_f32_e32 v25, v17, v105
	global_store_dwordx2 v[108:109], v[28:29], off
	v_mov_b32_e32 v28, v153
	v_fma_f32 v109, v61, v16, -v25
	s_waitcnt vmcnt(9)
	v_mul_f32_e32 v25, v23, v100
	v_mad_u64_u32 v[28:29], s[18:19], s17, v49, v[28:29]
	v_mov_b32_e32 v31, v137
	v_fma_f32 v111, v54, v22, -v25
	v_add_u32_e32 v25, v159, v59
	v_mov_b32_e32 v35, v113
	v_mov_b32_e32 v153, v28
	v_pk_add_f32 v[136:137], v[30:31], v[34:35] neg_lo:[0,1] neg_hi:[0,1]
	ds_read_b32 v59, v25
	v_lshl_add_u64 v[28:29], v[138:139], 3, v[88:89]
	v_pk_mul_f32 v[138:139], v[122:123], s[10:11]
	v_pk_mul_f32 v[30:31], v[142:143], s[4:5]
	v_mov_b32_e32 v25, v146
	v_mov_b32_e32 v27, v125
	;; [unrolled: 1-line block ×4, first 2 shown]
	v_pk_add_f32 v[24:25], v[24:25], v[26:27] neg_lo:[0,1] neg_hi:[0,1]
	v_mov_b32_e32 v26, v134
	v_mov_b32_e32 v27, v31
	v_pk_fma_f32 v[34:35], v[136:137], s[12:13], v[34:35] op_sel_hi:[1,0,1] neg_lo:[1,0,1] neg_hi:[1,0,1]
	v_pk_fma_f32 v[26:27], v[24:25], s[2:3], v[26:27] op_sel_hi:[1,0,1] neg_lo:[1,0,1] neg_hi:[1,0,1]
	v_pk_add_f32 v[34:35], v[34:35], v[148:149]
	v_pk_fma_f32 v[26:27], v[32:33], s[0:1], v[26:27] op_sel_hi:[1,0,1]
	v_mov_b32_e32 v31, v135
	v_pk_add_f32 v[142:143], v[34:35], v[26:27] neg_lo:[0,1] neg_hi:[0,1]
	v_pk_add_f32 v[146:147], v[34:35], v[26:27]
	v_mov_b32_e32 v27, v143
	v_mov_b32_e32 v26, v146
	global_store_dwordx2 v[28:29], v[26:27], off
	ds_read2_b32 v[116:117], v168 offset0:119 offset1:168
	ds_read2_b32 v[114:115], v164 offset0:201 offset1:250
	v_pk_fma_f32 v[34:35], v[24:25], s[2:3], v[30:31] op_sel_hi:[1,0,1] neg_lo:[0,0,1] neg_hi:[0,0,1]
	global_load_dwordx4 v[24:27], v[106:107], off offset:2704
	global_load_dwordx4 v[28:31], v[106:107], off offset:2688
	v_mov_b32_e32 v139, v133
	v_pk_fma_f32 v[134:135], v[32:33], s[0:1], v[34:35] op_sel_hi:[1,0,1]
	global_load_dwordx4 v[32:35], v[106:107], off offset:2720
	v_pk_fma_f32 v[132:133], v[136:137], s[12:13], v[138:139] op_sel_hi:[1,0,1] neg_lo:[0,0,1] neg_hi:[0,0,1]
	ds_read2_b32 v[122:123], v160 offset0:157 offset1:206
	v_pk_add_f32 v[132:133], v[132:133], v[148:149]
	v_lshl_add_u64 v[136:137], v[140:141], 3, v[88:89]
	v_pk_add_f32 v[138:139], v[132:133], v[134:135]
	v_pk_add_f32 v[132:133], v[132:133], v[134:135] neg_lo:[0,1] neg_hi:[0,1]
	v_add_u32_e32 v78, 0x6b3, v47
	v_mov_b32_e32 v134, v132
	v_mov_b32_e32 v135, v139
	ds_read2_b32 v[106:107], v163 offset0:111 offset1:160
	ds_read2_b32 v[124:125], v162 offset0:65 offset1:114
	global_store_dwordx2 v[136:137], v[134:135], off
	v_mad_u64_u32 v[134:135], s[18:19], s16, v78, 0
	v_mov_b32_e32 v139, v133
	v_lshl_add_u64 v[132:133], v[152:153], 3, v[88:89]
	v_add_u32_e32 v47, 0x80a, v47
	v_mov_b32_e32 v76, v135
	global_store_dwordx2 v[132:133], v[138:139], off
	v_mad_u64_u32 v[132:133], s[18:19], s16, v47, 0
	s_waitcnt vmcnt(9)
	v_mul_f32_e32 v49, v37, v119
	v_mad_u64_u32 v[136:137], s[18:19], s17, v78, v[76:77]
	v_mov_b32_e32 v76, v133
	v_fma_f32 v137, v77, v36, -v49
	s_waitcnt vmcnt(8) lgkmcnt(2)
	v_mul_f32_e32 v49, v131, v122
	v_mad_u64_u32 v[138:139], s[18:19], s17, v47, v[76:77]
	v_add_u32_e32 v47, 0x93, v161
	v_fma_f32 v141, v70, v130, -v49
	v_mul_hi_u32 v49, v47, s1
	v_lshrrev_b32_e32 v49, 8, v49
	v_mul_u32_u24_e32 v76, 0x157, v49
	v_mov_b32_e32 v135, v136
	v_mov_b32_e32 v133, v138
	v_sub_u32_e32 v47, v47, v76
	v_lshl_add_u64 v[134:135], v[134:135], 3, v[88:89]
	v_lshl_add_u64 v[132:133], v[132:133], 3, v[88:89]
	v_mov_b32_e32 v143, v147
	v_mov_b32_e32 v145, v151
	v_mad_u32_u24 v47, v49, s3, v47
	global_store_dwordx2 v[134:135], v[142:143], off
	global_store_dwordx2 v[132:133], v[144:145], off
	v_mad_u64_u32 v[132:133], s[18:19], s16, v47, 0
	v_mov_b32_e32 v76, v133
	v_mad_u64_u32 v[134:135], s[18:19], s17, v47, v[76:77]
	v_add_u32_e32 v49, 0x157, v47
	v_mov_b32_e32 v133, v134
	v_mad_u64_u32 v[134:135], s[18:19], s16, v49, 0
	v_mov_b32_e32 v76, v135
	v_mad_u64_u32 v[138:139], s[18:19], s17, v49, v[76:77]
	v_add_u32_e32 v49, 0x2ae, v47
	v_mov_b32_e32 v135, v138
	;; [unrolled: 5-line block ×3, first 2 shown]
	v_mad_u64_u32 v[142:143], s[18:19], s16, v49, 0
	v_mov_b32_e32 v76, v143
	v_mad_u64_u32 v[144:145], s[18:19], s17, v49, v[76:77]
	v_mov_b32_e32 v146, v129
	v_mov_b32_e32 v147, v40
	;; [unrolled: 1-line block ×3, first 2 shown]
	v_mul_f32_e32 v126, v128, v127
	v_mov_b32_e32 v143, v144
	v_mov_b32_e32 v76, v81
	;; [unrolled: 1-line block ×5, first 2 shown]
	v_pk_mul_f32 v[146:147], v[146:147], v[120:121]
	v_mov_b32_e32 v148, v39
	v_mov_b32_e32 v149, v42
	s_waitcnt lgkmcnt(0)
	v_mov_b32_e32 v150, v124
	v_mov_b32_e32 v151, v106
	v_fmac_f32_e32 v126, v81, v129
	v_pk_fma_f32 v[128:129], v[76:77], v[128:129], v[146:147] neg_lo:[0,0,1] neg_hi:[0,0,1]
	v_pk_fma_f32 v[144:145], v[78:79], v[144:145], v[146:147]
	v_mov_b32_e32 v146, v72
	v_mov_b32_e32 v147, v68
	v_pk_mul_f32 v[148:149], v[148:149], v[150:151]
	v_mov_b32_e32 v150, v38
	v_mov_b32_e32 v151, v43
	v_pk_fma_f32 v[146:147], v[146:147], v[150:151], v[148:149]
	v_mov_b32_e32 v151, v130
	v_mov_b32_e32 v150, v41
	;; [unrolled: 1-line block ×4, first 2 shown]
	v_pk_mul_f32 v[120:121], v[150:151], v[120:121]
	v_mov_b32_e32 v151, v70
	v_mov_b32_e32 v70, v79
	;; [unrolled: 1-line block ×4, first 2 shown]
	v_pk_fma_f32 v[40:41], v[70:71], v[40:41], v[120:121] neg_lo:[0,0,1] neg_hi:[0,0,1]
	v_mul_f32_e32 v78, v38, v124
	v_pk_fma_f32 v[130:131], v[150:151], v[130:131], v[120:121]
	v_mov_b32_e32 v120, v43
	v_add_u32_e32 v41, 0x55c, v47
	v_mov_b32_e32 v121, v36
	v_mov_b32_e32 v118, v106
	v_fmac_f32_e32 v78, v72, v39
	v_pk_fma_f32 v[38:39], v[72:73], v[38:39], v[148:149] neg_lo:[0,0,1] neg_hi:[0,0,1]
	v_mov_b32_e32 v43, v37
	v_mad_u64_u32 v[148:149], s[18:19], s16, v41, 0
	v_mov_b32_e32 v76, v68
	v_pk_mul_f32 v[118:119], v[120:121], v[118:119]
	v_mov_b32_e32 v36, v149
	v_pk_fma_f32 v[120:121], v[76:77], v[42:43], v[118:119] neg_lo:[0,0,1] neg_hi:[0,0,1]
	v_pk_fma_f32 v[42:43], v[76:77], v[42:43], v[118:119]
	v_mad_u64_u32 v[36:37], s[18:19], s17, v41, v[36:37]
	v_mov_b32_e32 v129, v145
	v_mov_b32_e32 v39, v147
	v_mov_b32_e32 v41, v131
	v_mov_b32_e32 v121, v43
	v_add_f32_e32 v151, v78, v126
	v_add_f32_e32 v152, v137, v141
	v_mov_b32_e32 v149, v36
	v_pk_add_f32 v[36:37], v[38:39], v[128:129] neg_lo:[0,1] neg_hi:[0,1]
	v_pk_add_f32 v[76:77], v[120:121], v[40:41]
	v_pk_add_f32 v[128:129], v[38:39], v[128:129]
	v_add_f32_e32 v119, v77, v151
	v_add_f32_e32 v38, v152, v128
	v_mov_b32_e32 v39, v129
	v_mov_b32_e32 v118, v76
	v_pk_add_f32 v[118:119], v[38:39], v[118:119]
	v_add_u32_e32 v39, v158, v67
	ds_read_b32 v67, v39
	v_add_u32_e32 v39, v99, v75
	ds_read_b32 v75, v39
	s_waitcnt vmcnt(5)
	v_mul_f32_e32 v41, v29, v104
	v_mov_b32_e32 v79, v120
	v_fma_f32 v41, v60, v28, -v41
	v_mov_b32_e32 v130, v131
	v_mov_b32_e32 v131, v40
	;; [unrolled: 1-line block ×6, first 2 shown]
	v_pk_add_f32 v[78:79], v[78:79], v[126:127] neg_lo:[0,1] neg_hi:[0,1]
	v_pk_add_f32 v[42:43], v[40:41], v[130:131] neg_lo:[0,1] neg_hi:[0,1]
	;; [unrolled: 1-line block ×3, first 2 shown]
	v_add_f32_e32 v38, v109, v111
	v_lshl_add_u64 v[120:121], v[132:133], 3, v[88:89]
	v_mov_b32_e32 v153, v129
	v_mov_b32_e32 v150, v76
	;; [unrolled: 1-line block ×3, first 2 shown]
	s_waitcnt lgkmcnt(0)
	v_pk_add_f32 v[74:75], v[74:75], v[118:119]
	v_mov_b32_e32 v140, v42
	v_mov_b32_e32 v141, v79
	;; [unrolled: 1-line block ×4, first 2 shown]
	v_lshl_add_u64 v[132:133], v[134:135], 3, v[88:89]
	v_pk_add_f32 v[134:135], v[152:153], v[150:151] neg_lo:[0,1] neg_hi:[0,1]
	v_pk_add_f32 v[130:131], v[78:79], v[38:39]
	v_pk_fma_f32 v[118:119], v[118:119], s[14:15], v[74:75] op_sel_hi:[1,0,1] neg_lo:[1,0,0] neg_hi:[1,0,0]
	v_pk_add_f32 v[140:141], v[140:141], v[144:145] neg_lo:[0,1] neg_hi:[0,1]
	global_store_dwordx2 v[120:121], v[74:75], off
	v_pk_add_f32 v[74:75], v[136:137], v[78:79]
	v_pk_mul_f32 v[134:135], v[134:135], s[8:9]
	v_pk_add_f32 v[126:127], v[76:77], v[128:129] neg_lo:[0,1] neg_hi:[0,1]
	v_mov_b32_e32 v43, v131
	v_pk_mul_f32 v[140:141], v[140:141], s[6:7]
	v_pk_add_f32 v[144:145], v[136:137], v[78:79] neg_lo:[0,1] neg_hi:[0,1]
	v_mov_b32_e32 v75, v137
	v_pk_fma_f32 v[130:131], v[126:127], s[10:11], v[134:135]
	v_pk_fma_f32 v[146:147], v[144:145], s[4:5], v[140:141]
	v_pk_add_f32 v[74:75], v[74:75], v[42:43]
	v_mov_b32_e32 v129, v151
	v_mov_b32_e32 v153, v77
	v_pk_mul_f32 v[126:127], v[126:127], s[10:11]
	v_pk_mul_f32 v[144:145], v[144:145], s[4:5]
	v_mov_b32_e32 v79, v36
	v_mov_b32_e32 v43, v137
	v_pk_add_f32 v[128:129], v[128:129], v[152:153] neg_lo:[0,1] neg_hi:[0,1]
	v_mov_b32_e32 v152, v134
	v_mov_b32_e32 v153, v127
	v_pk_add_f32 v[42:43], v[78:79], v[42:43] neg_lo:[0,1] neg_hi:[0,1]
	v_mov_b32_e32 v78, v140
	v_mov_b32_e32 v79, v145
	v_pk_fma_f32 v[152:153], v[128:129], s[12:13], v[152:153] op_sel_hi:[1,0,1] neg_lo:[1,0,1] neg_hi:[1,0,1]
	v_pk_fma_f32 v[78:79], v[42:43], s[2:3], v[78:79] op_sel_hi:[1,0,1] neg_lo:[1,0,1] neg_hi:[1,0,1]
	v_pk_add_f32 v[130:131], v[130:131], v[118:119]
	v_pk_fma_f32 v[120:121], v[74:75], s[0:1], v[146:147] op_sel_hi:[1,0,1]
	v_pk_add_f32 v[152:153], v[152:153], v[118:119]
	v_pk_fma_f32 v[78:79], v[74:75], s[0:1], v[78:79] op_sel_hi:[1,0,1]
	v_pk_add_f32 v[146:147], v[130:131], v[120:121] neg_lo:[0,1] neg_hi:[0,1]
	v_pk_add_f32 v[120:121], v[130:131], v[120:121]
	v_pk_add_f32 v[136:137], v[152:153], v[78:79] neg_lo:[0,1] neg_hi:[0,1]
	v_pk_add_f32 v[78:79], v[152:153], v[78:79]
	v_mul_f32_e32 v80, v20, v117
	v_mul_f32_e32 v112, v18, v102
	v_mov_b32_e32 v130, v120
	v_mov_b32_e32 v131, v147
	v_lshl_add_u64 v[138:139], v[138:139], 3, v[88:89]
	v_add_u32_e32 v39, 0x80a, v47
	v_mov_b32_e32 v152, v78
	v_mov_b32_e32 v153, v137
	v_fmac_f32_e32 v80, v65, v21
	v_fmac_f32_e32 v112, v56, v19
	global_store_dwordx2 v[132:133], v[130:131], off
	global_store_dwordx2 v[138:139], v[152:153], off
	v_mad_u64_u32 v[138:139], s[18:19], s16, v39, 0
	v_add_f32_e32 v37, v112, v80
	v_mov_b32_e32 v36, v139
	v_add_u32_e32 v68, 0x6b3, v47
	v_mad_u64_u32 v[152:153], s[18:19], s17, v39, v[36:37]
	v_add_u32_e32 v36, 0xc4, v161
	v_mad_u64_u32 v[130:131], s[18:19], s16, v68, 0
	v_mov_b32_e32 v145, v141
	v_mul_hi_u32 v39, v36, s1
	v_mov_b32_e32 v40, v131
	v_pk_fma_f32 v[42:43], v[42:43], s[2:3], v[144:145] op_sel_hi:[1,0,1] neg_lo:[0,0,1] neg_hi:[0,0,1]
	v_mov_b32_e32 v127, v135
	v_lshrrev_b32_e32 v39, 8, v39
	v_mad_u64_u32 v[132:133], s[18:19], s17, v68, v[40:41]
	v_pk_fma_f32 v[42:43], v[74:75], s[0:1], v[42:43] op_sel_hi:[1,0,1]
	v_pk_fma_f32 v[74:75], v[128:129], s[12:13], v[126:127] op_sel_hi:[1,0,1] neg_lo:[0,0,1] neg_hi:[0,0,1]
	v_mul_u32_u24_e32 v40, 0x157, v39
	v_pk_add_f32 v[74:75], v[74:75], v[118:119]
	v_sub_u32_e32 v36, v36, v40
	v_pk_add_f32 v[118:119], v[74:75], v[42:43]
	v_pk_add_f32 v[42:43], v[74:75], v[42:43] neg_lo:[0,1] neg_hi:[0,1]
	v_mad_u32_u24 v39, v39, s3, v36
	v_mov_b32_e32 v74, v42
	v_mov_b32_e32 v75, v119
	;; [unrolled: 1-line block ×3, first 2 shown]
	v_mad_u64_u32 v[42:43], s[18:19], s16, v39, 0
	v_lshl_add_u64 v[142:143], v[142:143], 3, v[88:89]
	v_mov_b32_e32 v36, v43
	global_store_dwordx2 v[142:143], v[74:75], off
	v_mad_u64_u32 v[74:75], s[18:19], s17, v39, v[36:37]
	v_add_u32_e32 v40, 0x157, v39
	v_mov_b32_e32 v43, v74
	v_mad_u64_u32 v[74:75], s[18:19], s16, v40, 0
	v_mov_b32_e32 v36, v75
	v_mov_b32_e32 v137, v79
	v_mad_u64_u32 v[78:79], s[18:19], s17, v40, v[36:37]
	v_add_u32_e32 v40, 0x2ae, v39
	v_mov_b32_e32 v75, v78
	v_mad_u64_u32 v[78:79], s[18:19], s16, v40, 0
	v_lshl_add_u64 v[148:149], v[148:149], 3, v[88:89]
	v_mov_b32_e32 v36, v79
	global_store_dwordx2 v[148:149], v[118:119], off
	v_mad_u64_u32 v[118:119], s[18:19], s17, v40, v[36:37]
	v_add_u32_e32 v40, 0x405, v39
	v_mov_b32_e32 v79, v118
	v_mad_u64_u32 v[118:119], s[18:19], s16, v40, 0
	v_mov_b32_e32 v36, v119
	v_mad_u64_u32 v[126:127], s[18:19], s17, v40, v[36:37]
	v_add_u32_e32 v40, 0x55c, v39
	v_mov_b32_e32 v119, v126
	v_mad_u64_u32 v[126:127], s[18:19], s16, v40, 0
	v_mov_b32_e32 v36, v127
	v_mad_u64_u32 v[128:129], s[18:19], s17, v40, v[36:37]
	v_add_u32_e32 v40, 0x6b3, v39
	v_mov_b32_e32 v131, v132
	v_mov_b32_e32 v127, v128
	v_mad_u64_u32 v[128:129], s[18:19], s16, v40, 0
	v_lshl_add_u64 v[130:131], v[130:131], 3, v[88:89]
	v_mov_b32_e32 v36, v129
	global_store_dwordx2 v[130:131], v[136:137], off
	v_mad_u64_u32 v[130:131], s[18:19], s17, v40, v[36:37]
	v_add_u32_e32 v39, 0x80a, v39
	v_mov_b32_e32 v139, v152
	v_mov_b32_e32 v129, v130
	v_mad_u64_u32 v[130:131], s[18:19], s16, v39, 0
	v_lshl_add_u64 v[138:139], v[138:139], 3, v[88:89]
	v_mov_b32_e32 v147, v121
	v_mov_b32_e32 v36, v131
	global_store_dwordx2 v[138:139], v[146:147], off
	v_mad_u64_u32 v[134:135], s[18:19], s17, v39, v[36:37]
	s_waitcnt vmcnt(11)
	v_mov_b32_e32 v138, v33
	v_mov_b32_e32 v139, v24
	;; [unrolled: 1-line block ×4, first 2 shown]
	v_mul_f32_e32 v72, v32, v116
	v_mov_b32_e32 v131, v134
	v_mov_b32_e32 v134, v64
	;; [unrolled: 1-line block ×5, first 2 shown]
	v_pk_mul_f32 v[138:139], v[138:139], v[140:141]
	v_mul_f32_e32 v49, v35, v123
	v_fmac_f32_e32 v72, v64, v33
	v_pk_fma_f32 v[32:33], v[64:65], v[32:33], v[138:139] neg_lo:[0,0,1] neg_hi:[0,0,1]
	v_pk_fma_f32 v[134:135], v[134:135], v[136:137], v[138:139]
	v_mov_b32_e32 v138, v31
	v_mov_b32_e32 v139, v26
	;; [unrolled: 1-line block ×6, first 2 shown]
	v_fma_f32 v133, v71, v34, -v49
	v_mul_f32_e32 v76, v30, v125
	v_pk_mul_f32 v[124:125], v[138:139], v[106:107]
	v_mov_b32_e32 v70, v62
	v_mov_b32_e32 v138, v24
	;; [unrolled: 1-line block ×3, first 2 shown]
	v_pk_mul_f32 v[34:35], v[140:141], v[122:123]
	v_mov_b32_e32 v36, v73
	v_mov_b32_e32 v68, v73
	;; [unrolled: 1-line block ×4, first 2 shown]
	v_pk_fma_f32 v[24:25], v[62:63], v[24:25], v[34:35] neg_lo:[0,0,1] neg_hi:[0,0,1]
	v_pk_fma_f32 v[34:35], v[70:71], v[138:139], v[34:35]
	v_mov_b32_e32 v70, v26
	v_mov_b32_e32 v71, v29
	;; [unrolled: 1-line block ×6, first 2 shown]
	v_fmac_f32_e32 v76, v73, v31
	v_pk_fma_f32 v[30:31], v[36:37], v[30:31], v[124:125] neg_lo:[0,0,1] neg_hi:[0,0,1]
	v_pk_fma_f32 v[124:125], v[68:69], v[136:137], v[124:125]
	v_mov_b32_e32 v68, v69
	v_mov_b32_e32 v69, v60
	v_pk_mul_f32 v[26:27], v[26:27], v[28:29]
	v_mov_b32_e32 v33, v135
	v_mov_b32_e32 v31, v125
	v_pk_fma_f32 v[28:29], v[68:69], v[70:71], v[26:27] neg_lo:[0,0,1] neg_hi:[0,0,1]
	v_pk_fma_f32 v[26:27], v[68:69], v[70:71], v[26:27]
	v_pk_add_f32 v[136:137], v[30:31], v[32:33] neg_lo:[0,1] neg_hi:[0,1]
	v_mov_b32_e32 v25, v35
	v_mov_b32_e32 v29, v27
	;; [unrolled: 1-line block ×4, first 2 shown]
	v_pk_add_f32 v[68:69], v[28:29], v[24:25]
	v_mov_b32_e32 v28, v35
	v_mov_b32_e32 v29, v24
	v_pk_add_f32 v[24:25], v[76:77], v[72:73] neg_lo:[0,1] neg_hi:[0,1]
	v_mov_b32_e32 v26, v27
	v_mov_b32_e32 v27, v136
	v_pk_add_f32 v[28:29], v[26:27], v[28:29] neg_lo:[0,1] neg_hi:[0,1]
	v_pk_add_f32 v[26:27], v[24:25], v[26:27]
	v_mov_b32_e32 v40, v125
	v_mov_b32_e32 v132, v135
	v_add_f32_e32 v151, v76, v72
	v_add_f32_e32 v120, v41, v133
	v_pk_add_f32 v[30:31], v[30:31], v[32:33]
	v_mov_b32_e32 v29, v27
	v_pk_add_f32 v[26:27], v[40:41], v[132:133] neg_lo:[0,1] neg_hi:[0,1]
	v_add_f32_e32 v71, v69, v151
	v_mov_b32_e32 v121, v31
	v_mov_b32_e32 v150, v68
	v_add_f32_e32 v138, v120, v30
	v_mov_b32_e32 v139, v31
	v_mov_b32_e32 v70, v68
	;; [unrolled: 1-line block ×6, first 2 shown]
	v_pk_add_f32 v[32:33], v[120:121], v[150:151] neg_lo:[0,1] neg_hi:[0,1]
	v_pk_add_f32 v[70:71], v[138:139], v[70:71]
	v_pk_add_f32 v[34:35], v[34:35], v[40:41] neg_lo:[0,1] neg_hi:[0,1]
	v_pk_add_f32 v[76:77], v[26:27], v[24:25]
	v_pk_mul_f32 v[32:33], v[32:33], s[8:9]
	v_pk_add_f32 v[106:107], v[68:69], v[30:31] neg_lo:[0,1] neg_hi:[0,1]
	v_pk_add_f32 v[66:67], v[66:67], v[70:71]
	v_pk_mul_f32 v[34:35], v[34:35], s[6:7]
	v_pk_add_f32 v[40:41], v[26:27], v[24:25] neg_lo:[0,1] neg_hi:[0,1]
	v_mov_b32_e32 v77, v27
	v_pk_mul_f32 v[122:123], v[106:107], s[10:11]
	v_pk_fma_f32 v[106:107], v[106:107], s[10:11], v[32:33]
	v_pk_fma_f32 v[70:71], v[70:71], s[14:15], v[66:67] op_sel_hi:[1,0,1] neg_lo:[1,0,0] neg_hi:[1,0,0]
	v_pk_mul_f32 v[72:73], v[40:41], s[4:5]
	v_pk_fma_f32 v[40:41], v[40:41], s[4:5], v[34:35]
	v_pk_add_f32 v[76:77], v[76:77], v[28:29]
	v_pk_add_f32 v[106:107], v[106:107], v[70:71]
	v_pk_fma_f32 v[40:41], v[76:77], s[0:1], v[40:41] op_sel_hi:[1,0,1]
	v_lshl_add_u64 v[42:43], v[42:43], 3, v[88:89]
	v_pk_add_f32 v[124:125], v[106:107], v[40:41] neg_lo:[0,1] neg_hi:[0,1]
	v_pk_add_f32 v[40:41], v[106:107], v[40:41]
	v_lshl_add_u64 v[74:75], v[74:75], 3, v[88:89]
	global_store_dwordx2 v[42:43], v[66:67], off
	v_mov_b32_e32 v42, v40
	v_mov_b32_e32 v43, v125
	;; [unrolled: 1-line block ×6, first 2 shown]
	global_store_dwordx2 v[74:75], v[42:43], off
	v_mov_b32_e32 v42, v32
	v_mov_b32_e32 v43, v123
	v_pk_add_f32 v[30:31], v[30:31], v[120:121] neg_lo:[0,1] neg_hi:[0,1]
	v_pk_add_f32 v[24:25], v[24:25], v[28:29] neg_lo:[0,1] neg_hi:[0,1]
	v_mov_b32_e32 v26, v34
	v_mov_b32_e32 v27, v73
	;; [unrolled: 1-line block ×4, first 2 shown]
	v_pk_fma_f32 v[42:43], v[30:31], s[12:13], v[42:43] op_sel_hi:[1,0,1] neg_lo:[1,0,1] neg_hi:[1,0,1]
	v_pk_fma_f32 v[26:27], v[24:25], s[2:3], v[26:27] op_sel_hi:[1,0,1] neg_lo:[1,0,1] neg_hi:[1,0,1]
	;; [unrolled: 1-line block ×4, first 2 shown]
	v_pk_fma_f32 v[24:25], v[76:77], s[0:1], v[24:25] op_sel_hi:[1,0,1]
	v_pk_add_f32 v[30:31], v[30:31], v[70:71]
	v_pk_add_f32 v[42:43], v[42:43], v[70:71]
	;; [unrolled: 1-line block ×3, first 2 shown]
	v_pk_add_f32 v[24:25], v[30:31], v[24:25] neg_lo:[0,1] neg_hi:[0,1]
	v_pk_fma_f32 v[26:27], v[76:77], s[0:1], v[26:27] op_sel_hi:[1,0,1]
	v_mov_b32_e32 v30, v24
	v_add_u32_e32 v24, 0xf5, v161
	v_mov_b32_e32 v31, v33
	v_mov_b32_e32 v33, v25
	v_mul_hi_u32 v25, v24, s1
	v_pk_add_f32 v[28:29], v[42:43], v[26:27] neg_lo:[0,1] neg_hi:[0,1]
	v_pk_add_f32 v[26:27], v[42:43], v[26:27]
	v_lshrrev_b32_e32 v25, 8, v25
	v_mov_b32_e32 v42, v26
	v_mul_u32_u24_e32 v26, 0x157, v25
	v_sub_u32_e32 v24, v24, v26
	v_mad_u32_u24 v39, v25, s3, v24
	v_mad_u64_u32 v[24:25], s[18:19], s16, v39, 0
	v_lshl_add_u64 v[78:79], v[78:79], 3, v[88:89]
	v_lshl_add_u64 v[118:119], v[118:119], 3, v[88:89]
	;; [unrolled: 1-line block ×4, first 2 shown]
	v_mov_b32_e32 v43, v29
	v_mov_b32_e32 v29, v27
	;; [unrolled: 1-line block ×3, first 2 shown]
	global_store_dwordx2 v[78:79], v[42:43], off
	global_store_dwordx2 v[118:119], v[30:31], off
	;; [unrolled: 1-line block ×4, first 2 shown]
	v_mad_u64_u32 v[26:27], s[18:19], s17, v39, v[26:27]
	v_add_u32_e32 v29, 0x157, v39
	v_mov_b32_e32 v25, v26
	v_mad_u64_u32 v[26:27], s[18:19], s16, v29, 0
	v_mov_b32_e32 v28, v27
	v_mad_u64_u32 v[28:29], s[18:19], s17, v29, v[28:29]
	v_add_u32_e32 v31, 0x2ae, v39
	v_mov_b32_e32 v27, v28
	v_mad_u64_u32 v[28:29], s[18:19], s16, v31, 0
	v_mov_b32_e32 v30, v29
	;; [unrolled: 5-line block ×5, first 2 shown]
	v_mov_b32_e32 v125, v41
	v_mad_u64_u32 v[40:41], s[18:19], s17, v40, v[36:37]
	v_add_u32_e32 v39, 0x80a, v39
	v_mov_b32_e32 v35, v40
	v_mad_u64_u32 v[40:41], s[18:19], s16, v39, 0
	v_mov_b32_e32 v36, v41
	v_mad_u64_u32 v[42:43], s[18:19], s17, v39, v[36:37]
	v_mov_b32_e32 v36, v65
	v_mov_b32_e32 v62, v65
	;; [unrolled: 1-line block ×8, first 2 shown]
	v_pk_mul_f32 v[64:65], v[64:65], v[114:115]
	v_mov_b32_e32 v68, v19
	v_mov_b32_e32 v69, v14
	v_mov_b32_e32 v70, v102
	v_mov_b32_e32 v71, v96
	v_pk_fma_f32 v[20:21], v[36:37], v[20:21], v[64:65] neg_lo:[0,0,1] neg_hi:[0,0,1]
	v_pk_fma_f32 v[42:43], v[62:63], v[42:43], v[64:65]
	v_mov_b32_e32 v64, v56
	v_mov_b32_e32 v65, v52
	;; [unrolled: 1-line block ×4, first 2 shown]
	v_pk_mul_f32 v[68:69], v[68:69], v[70:71]
	v_mov_b32_e32 v70, v13
	v_pk_fma_f32 v[18:19], v[56:57], v[18:19], v[68:69] neg_lo:[0,0,1] neg_hi:[0,0,1]
	v_pk_fma_f32 v[64:65], v[64:65], v[66:67], v[68:69]
	v_mov_b32_e32 v69, v23
	v_mov_b32_e32 v71, v22
	v_mov_b32_e32 v22, v115
	v_mov_b32_e32 v23, v100
	v_mov_b32_e32 v36, v63
	v_mov_b32_e32 v62, v63
	v_mov_b32_e32 v63, v54
	v_mov_b32_e32 v68, v12
	v_pk_mul_f32 v[22:23], v[70:71], v[22:23]
	v_mov_b32_e32 v104, v96
	v_pk_fma_f32 v[12:13], v[36:37], v[12:13], v[22:23] neg_lo:[0,0,1] neg_hi:[0,0,1]
	v_pk_fma_f32 v[22:23], v[62:63], v[68:69], v[22:23]
	v_mov_b32_e32 v62, v14
	v_mov_b32_e32 v14, v15
	;; [unrolled: 1-line block ×5, first 2 shown]
	v_pk_mul_f32 v[14:15], v[14:15], v[104:105]
	v_mov_b32_e32 v21, v43
	v_mov_b32_e32 v19, v65
	v_pk_fma_f32 v[16:17], v[60:61], v[62:63], v[14:15] neg_lo:[0,0,1] neg_hi:[0,0,1]
	v_pk_fma_f32 v[14:15], v[60:61], v[62:63], v[14:15]
	v_pk_add_f32 v[66:67], v[18:19], v[20:21] neg_lo:[0,1] neg_hi:[0,1]
	v_mov_b32_e32 v13, v23
	v_mov_b32_e32 v17, v15
	;; [unrolled: 1-line block ×4, first 2 shown]
	v_pk_add_f32 v[60:61], v[16:17], v[12:13]
	v_mov_b32_e32 v16, v23
	v_mov_b32_e32 v17, v12
	v_pk_add_f32 v[12:13], v[112:113], v[80:81] neg_lo:[0,1] neg_hi:[0,1]
	v_mov_b32_e32 v14, v15
	v_mov_b32_e32 v15, v66
	v_pk_add_f32 v[16:17], v[14:15], v[16:17] neg_lo:[0,1] neg_hi:[0,1]
	v_pk_add_f32 v[14:15], v[12:13], v[14:15]
	v_mov_b32_e32 v108, v65
	v_mov_b32_e32 v110, v43
	v_pk_add_f32 v[18:19], v[18:19], v[20:21]
	v_mov_b32_e32 v17, v15
	v_pk_add_f32 v[14:15], v[108:109], v[110:111] neg_lo:[0,1] neg_hi:[0,1]
	v_add_f32_e32 v63, v61, v37
	v_mov_b32_e32 v39, v19
	v_mov_b32_e32 v36, v60
	v_add_f32_e32 v72, v38, v18
	v_mov_b32_e32 v73, v19
	v_mov_b32_e32 v62, v60
	v_mov_b32_e32 v22, v16
	v_mov_b32_e32 v23, v13
	v_mov_b32_e32 v42, v14
	v_mov_b32_e32 v43, v66
	v_pk_add_f32 v[20:21], v[38:39], v[36:37] neg_lo:[0,1] neg_hi:[0,1]
	v_pk_add_f32 v[62:63], v[72:73], v[62:63]
	v_pk_add_f32 v[22:23], v[22:23], v[42:43] neg_lo:[0,1] neg_hi:[0,1]
	v_pk_add_f32 v[72:73], v[14:15], v[12:13]
	v_pk_mul_f32 v[20:21], v[20:21], s[8:9]
	v_pk_add_f32 v[68:69], v[60:61], v[18:19] neg_lo:[0,1] neg_hi:[0,1]
	v_pk_add_f32 v[58:59], v[58:59], v[62:63]
	v_pk_mul_f32 v[22:23], v[22:23], s[6:7]
	v_pk_add_f32 v[42:43], v[14:15], v[12:13] neg_lo:[0,1] neg_hi:[0,1]
	v_mov_b32_e32 v73, v15
	v_pk_mul_f32 v[70:71], v[68:69], s[10:11]
	v_pk_fma_f32 v[68:69], v[68:69], s[10:11], v[20:21]
	v_pk_fma_f32 v[62:63], v[62:63], s[14:15], v[58:59] op_sel_hi:[1,0,1] neg_lo:[1,0,0] neg_hi:[1,0,0]
	v_pk_mul_f32 v[64:65], v[42:43], s[4:5]
	v_pk_fma_f32 v[42:43], v[42:43], s[4:5], v[22:23]
	v_pk_add_f32 v[72:73], v[72:73], v[16:17]
	v_pk_add_f32 v[68:69], v[68:69], v[62:63]
	v_pk_fma_f32 v[42:43], v[72:73], s[0:1], v[42:43] op_sel_hi:[1,0,1]
	v_lshl_add_u64 v[130:131], v[130:131], 3, v[88:89]
	v_lshl_add_u64 v[24:25], v[24:25], 3, v[88:89]
	v_pk_add_f32 v[74:75], v[68:69], v[42:43] neg_lo:[0,1] neg_hi:[0,1]
	v_pk_add_f32 v[42:43], v[68:69], v[42:43]
	global_store_dwordx2 v[130:131], v[124:125], off
	v_lshl_add_u64 v[26:27], v[26:27], 3, v[88:89]
	global_store_dwordx2 v[24:25], v[58:59], off
	v_mov_b32_e32 v24, v42
	v_mov_b32_e32 v25, v75
	;; [unrolled: 1-line block ×6, first 2 shown]
	global_store_dwordx2 v[26:27], v[24:25], off
	v_mov_b32_e32 v24, v20
	v_mov_b32_e32 v25, v71
	v_pk_add_f32 v[18:19], v[18:19], v[38:39] neg_lo:[0,1] neg_hi:[0,1]
	v_pk_add_f32 v[12:13], v[12:13], v[16:17] neg_lo:[0,1] neg_hi:[0,1]
	v_mov_b32_e32 v14, v22
	v_mov_b32_e32 v15, v65
	;; [unrolled: 1-line block ×4, first 2 shown]
	v_pk_fma_f32 v[24:25], v[18:19], s[12:13], v[24:25] op_sel_hi:[1,0,1] neg_lo:[1,0,1] neg_hi:[1,0,1]
	v_pk_fma_f32 v[14:15], v[12:13], s[2:3], v[14:15] op_sel_hi:[1,0,1] neg_lo:[1,0,1] neg_hi:[1,0,1]
	;; [unrolled: 1-line block ×4, first 2 shown]
	v_pk_fma_f32 v[12:13], v[72:73], s[0:1], v[12:13] op_sel_hi:[1,0,1]
	v_pk_add_f32 v[18:19], v[18:19], v[62:63]
	v_pk_add_f32 v[24:25], v[24:25], v[62:63]
	;; [unrolled: 1-line block ×3, first 2 shown]
	v_pk_add_f32 v[12:13], v[18:19], v[12:13] neg_lo:[0,1] neg_hi:[0,1]
	v_pk_fma_f32 v[14:15], v[72:73], s[0:1], v[14:15] op_sel_hi:[1,0,1]
	v_mov_b32_e32 v18, v12
	v_add_u32_e32 v12, 0x126, v161
	v_mov_b32_e32 v19, v21
	v_mov_b32_e32 v21, v13
	v_mul_hi_u32 v13, v12, s1
	v_pk_add_f32 v[16:17], v[24:25], v[14:15] neg_lo:[0,1] neg_hi:[0,1]
	v_pk_add_f32 v[14:15], v[24:25], v[14:15]
	v_lshrrev_b32_e32 v13, 8, v13
	v_mov_b32_e32 v24, v14
	v_mul_u32_u24_e32 v14, 0x157, v13
	v_sub_u32_e32 v12, v12, v14
	v_mad_u32_u24 v26, v13, s3, v12
	v_mad_u64_u32 v[12:13], s[18:19], s16, v26, 0
	v_lshl_add_u64 v[28:29], v[28:29], 3, v[88:89]
	v_lshl_add_u64 v[30:31], v[30:31], 3, v[88:89]
	;; [unrolled: 1-line block ×4, first 2 shown]
	v_mov_b32_e32 v25, v17
	v_mov_b32_e32 v17, v15
	v_mov_b32_e32 v14, v13
	global_store_dwordx2 v[28:29], v[24:25], off
	global_store_dwordx2 v[30:31], v[18:19], off
	;; [unrolled: 1-line block ×4, first 2 shown]
	v_mad_u64_u32 v[14:15], s[18:19], s17, v26, v[14:15]
	v_add_u32_e32 v17, 0x157, v26
	v_mov_b32_e32 v13, v14
	v_mad_u64_u32 v[14:15], s[18:19], s16, v17, 0
	v_mov_b32_e32 v16, v15
	v_mad_u64_u32 v[16:17], s[18:19], s17, v17, v[16:17]
	v_add_u32_e32 v19, 0x2ae, v26
	v_mov_b32_e32 v15, v16
	v_mad_u64_u32 v[16:17], s[18:19], s16, v19, 0
	v_mov_b32_e32 v18, v17
	;; [unrolled: 5-line block ×6, first 2 shown]
	v_mad_u64_u32 v[26:27], s[16:17], s17, v27, v[26:27]
	v_mov_b32_e32 v28, v9
	v_mov_b32_e32 v29, v4
	v_mov_b32_e32 v87, v84
	v_mov_b32_e32 v25, v26
	v_mov_b32_e32 v49, v46
	v_mov_b32_e32 v26, v8
	v_mov_b32_e32 v27, v5
	v_pk_mul_f32 v[28:29], v[28:29], v[86:87]
	v_mul_f32_e32 v94, v8, v86
	v_pk_fma_f32 v[26:27], v[48:49], v[26:27], v[28:29]
	v_mov_b32_e32 v30, v3
	v_mov_b32_e32 v31, v6
	;; [unrolled: 1-line block ×6, first 2 shown]
	v_fmac_f32_e32 v94, v48, v9
	v_mul_f32_e32 v98, v2, v103
	v_pk_fma_f32 v[8:9], v[48:49], v[8:9], v[28:29] neg_lo:[0,0,1] neg_hi:[0,0,1]
	v_mov_b32_e32 v26, v57
	v_mov_b32_e32 v52, v57
	;; [unrolled: 1-line block ×4, first 2 shown]
	v_pk_mul_f32 v[30:31], v[30:31], v[96:97]
	v_mov_b32_e32 v47, v55
	v_mov_b32_e32 v32, v4
	;; [unrolled: 1-line block ×3, first 2 shown]
	v_pk_mul_f32 v[10:11], v[34:35], v[84:85]
	v_mov_b32_e32 v34, v6
	v_mov_b32_e32 v35, v1
	;; [unrolled: 1-line block ×6, first 2 shown]
	v_fmac_f32_e32 v98, v57, v3
	v_pk_fma_f32 v[2:3], v[26:27], v[2:3], v[30:31] neg_lo:[0,0,1] neg_hi:[0,0,1]
	v_pk_fma_f32 v[28:29], v[52:53], v[28:29], v[30:31]
	v_pk_fma_f32 v[4:5], v[46:47], v[4:5], v[10:11] neg_lo:[0,0,1] neg_hi:[0,0,1]
	v_pk_fma_f32 v[10:11], v[46:47], v[32:33], v[10:11]
	v_mov_b32_e32 v32, v53
	v_mov_b32_e32 v33, v44
	v_pk_mul_f32 v[0:1], v[6:7], v[0:1]
	v_mov_b32_e32 v9, v27
	v_mov_b32_e32 v3, v29
	v_pk_fma_f32 v[6:7], v[32:33], v[34:35], v[0:1] neg_lo:[0,0,1] neg_hi:[0,0,1]
	v_pk_fma_f32 v[0:1], v[32:33], v[34:35], v[0:1]
	v_pk_add_f32 v[30:31], v[2:3], v[8:9] neg_lo:[0,1] neg_hi:[0,1]
	v_mov_b32_e32 v5, v11
	v_mov_b32_e32 v7, v1
	;; [unrolled: 1-line block ×4, first 2 shown]
	v_pk_add_f32 v[32:33], v[6:7], v[4:5]
	v_mov_b32_e32 v6, v11
	v_mov_b32_e32 v7, v4
	v_pk_add_f32 v[4:5], v[98:99], v[94:95] neg_lo:[0,1] neg_hi:[0,1]
	v_mov_b32_e32 v0, v1
	v_mov_b32_e32 v1, v30
	v_pk_add_f32 v[6:7], v[0:1], v[6:7] neg_lo:[0,1] neg_hi:[0,1]
	v_pk_add_f32 v[0:1], v[4:5], v[0:1]
	v_mov_b32_e32 v44, v29
	v_mov_b32_e32 v82, v27
	v_add_f32_e32 v93, v98, v94
	v_add_f32_e32 v90, v45, v83
	v_lshl_add_u64 v[40:41], v[40:41], 3, v[88:89]
	v_mov_b32_e32 v75, v43
	v_pk_add_f32 v[2:3], v[2:3], v[8:9]
	v_mov_b32_e32 v7, v1
	v_pk_add_f32 v[0:1], v[44:45], v[82:83] neg_lo:[0,1] neg_hi:[0,1]
	global_store_dwordx2 v[40:41], v[74:75], off
	v_add_f32_e32 v35, v33, v93
	v_mov_b32_e32 v91, v3
	v_mov_b32_e32 v92, v32
	v_add_f32_e32 v40, v90, v2
	v_mov_b32_e32 v41, v3
	v_mov_b32_e32 v34, v32
	;; [unrolled: 1-line block ×6, first 2 shown]
	v_pk_add_f32 v[8:9], v[90:91], v[92:93] neg_lo:[0,1] neg_hi:[0,1]
	v_pk_add_f32 v[34:35], v[40:41], v[34:35]
	v_pk_add_f32 v[10:11], v[10:11], v[26:27] neg_lo:[0,1] neg_hi:[0,1]
	v_pk_add_f32 v[42:43], v[0:1], v[4:5]
	v_pk_mul_f32 v[8:9], v[8:9], s[8:9]
	v_pk_add_f32 v[36:37], v[32:33], v[2:3] neg_lo:[0,1] neg_hi:[0,1]
	v_pk_add_f32 v[40:41], v[50:51], v[34:35]
	v_pk_mul_f32 v[10:11], v[10:11], s[6:7]
	v_pk_add_f32 v[26:27], v[0:1], v[4:5] neg_lo:[0,1] neg_hi:[0,1]
	v_mov_b32_e32 v43, v1
	v_pk_mul_f32 v[38:39], v[36:37], s[10:11]
	v_pk_fma_f32 v[36:37], v[36:37], s[10:11], v[8:9]
	v_pk_fma_f32 v[34:35], v[34:35], s[14:15], v[40:41] op_sel_hi:[1,0,1] neg_lo:[1,0,0] neg_hi:[1,0,0]
	v_pk_mul_f32 v[28:29], v[26:27], s[4:5]
	v_pk_fma_f32 v[26:27], v[26:27], s[4:5], v[10:11]
	v_pk_add_f32 v[42:43], v[42:43], v[6:7]
	v_pk_add_f32 v[36:37], v[36:37], v[34:35]
	v_pk_fma_f32 v[26:27], v[42:43], s[0:1], v[26:27] op_sel_hi:[1,0,1]
	v_lshl_add_u64 v[12:13], v[12:13], 3, v[88:89]
	v_pk_add_f32 v[44:45], v[36:37], v[26:27] neg_lo:[0,1] neg_hi:[0,1]
	v_pk_add_f32 v[26:27], v[36:37], v[26:27]
	v_lshl_add_u64 v[14:15], v[14:15], 3, v[88:89]
	global_store_dwordx2 v[12:13], v[40:41], off
	v_mov_b32_e32 v12, v26
	v_mov_b32_e32 v13, v45
	;; [unrolled: 1-line block ×6, first 2 shown]
	global_store_dwordx2 v[14:15], v[12:13], off
	v_mov_b32_e32 v12, v8
	v_mov_b32_e32 v13, v39
	v_pk_add_f32 v[2:3], v[2:3], v[90:91] neg_lo:[0,1] neg_hi:[0,1]
	v_pk_add_f32 v[0:1], v[4:5], v[6:7] neg_lo:[0,1] neg_hi:[0,1]
	v_mov_b32_e32 v4, v10
	v_mov_b32_e32 v5, v29
	;; [unrolled: 1-line block ×4, first 2 shown]
	v_pk_fma_f32 v[12:13], v[2:3], s[12:13], v[12:13] op_sel_hi:[1,0,1] neg_lo:[1,0,1] neg_hi:[1,0,1]
	v_pk_fma_f32 v[4:5], v[0:1], s[2:3], v[4:5] op_sel_hi:[1,0,1] neg_lo:[1,0,1] neg_hi:[1,0,1]
	;; [unrolled: 1-line block ×4, first 2 shown]
	v_pk_add_f32 v[12:13], v[12:13], v[34:35]
	v_pk_fma_f32 v[4:5], v[42:43], s[0:1], v[4:5] op_sel_hi:[1,0,1]
	v_pk_fma_f32 v[0:1], v[42:43], s[0:1], v[0:1] op_sel_hi:[1,0,1]
	v_pk_add_f32 v[2:3], v[2:3], v[34:35]
	v_pk_add_f32 v[6:7], v[12:13], v[4:5] neg_lo:[0,1] neg_hi:[0,1]
	v_pk_add_f32 v[4:5], v[12:13], v[4:5]
	v_pk_add_f32 v[8:9], v[2:3], v[0:1]
	v_pk_add_f32 v[0:1], v[2:3], v[0:1] neg_lo:[0,1] neg_hi:[0,1]
	v_lshl_add_u64 v[16:17], v[16:17], 3, v[88:89]
	v_lshl_add_u64 v[18:19], v[18:19], 3, v[88:89]
	;; [unrolled: 1-line block ×5, first 2 shown]
	v_mov_b32_e32 v12, v4
	v_mov_b32_e32 v13, v7
	;; [unrolled: 1-line block ×7, first 2 shown]
	global_store_dwordx2 v[16:17], v[12:13], off
	global_store_dwordx2 v[18:19], v[2:3], off
	;; [unrolled: 1-line block ×5, first 2 shown]
.LBB0_15:
	s_endpgm
	.section	.rodata,"a",@progbits
	.p2align	6, 0x0
	.amdhsa_kernel fft_rtc_fwd_len2401_factors_7_7_7_7_wgs_49_tpt_49_halfLds_sp_op_CI_CI_sbrr_dirReg
		.amdhsa_group_segment_fixed_size 0
		.amdhsa_private_segment_fixed_size 0
		.amdhsa_kernarg_size 104
		.amdhsa_user_sgpr_count 2
		.amdhsa_user_sgpr_dispatch_ptr 0
		.amdhsa_user_sgpr_queue_ptr 0
		.amdhsa_user_sgpr_kernarg_segment_ptr 1
		.amdhsa_user_sgpr_dispatch_id 0
		.amdhsa_user_sgpr_kernarg_preload_length 0
		.amdhsa_user_sgpr_kernarg_preload_offset 0
		.amdhsa_user_sgpr_private_segment_size 0
		.amdhsa_uses_dynamic_stack 0
		.amdhsa_enable_private_segment 0
		.amdhsa_system_sgpr_workgroup_id_x 1
		.amdhsa_system_sgpr_workgroup_id_y 0
		.amdhsa_system_sgpr_workgroup_id_z 0
		.amdhsa_system_sgpr_workgroup_info 0
		.amdhsa_system_vgpr_workitem_id 0
		.amdhsa_next_free_vgpr 190
		.amdhsa_next_free_sgpr 32
		.amdhsa_accum_offset 192
		.amdhsa_reserve_vcc 1
		.amdhsa_float_round_mode_32 0
		.amdhsa_float_round_mode_16_64 0
		.amdhsa_float_denorm_mode_32 3
		.amdhsa_float_denorm_mode_16_64 3
		.amdhsa_dx10_clamp 1
		.amdhsa_ieee_mode 1
		.amdhsa_fp16_overflow 0
		.amdhsa_tg_split 0
		.amdhsa_exception_fp_ieee_invalid_op 0
		.amdhsa_exception_fp_denorm_src 0
		.amdhsa_exception_fp_ieee_div_zero 0
		.amdhsa_exception_fp_ieee_overflow 0
		.amdhsa_exception_fp_ieee_underflow 0
		.amdhsa_exception_fp_ieee_inexact 0
		.amdhsa_exception_int_div_zero 0
	.end_amdhsa_kernel
	.text
.Lfunc_end0:
	.size	fft_rtc_fwd_len2401_factors_7_7_7_7_wgs_49_tpt_49_halfLds_sp_op_CI_CI_sbrr_dirReg, .Lfunc_end0-fft_rtc_fwd_len2401_factors_7_7_7_7_wgs_49_tpt_49_halfLds_sp_op_CI_CI_sbrr_dirReg
                                        ; -- End function
	.section	.AMDGPU.csdata,"",@progbits
; Kernel info:
; codeLenInByte = 27924
; NumSgprs: 38
; NumVgprs: 190
; NumAgprs: 0
; TotalNumVgprs: 190
; ScratchSize: 0
; MemoryBound: 0
; FloatMode: 240
; IeeeMode: 1
; LDSByteSize: 0 bytes/workgroup (compile time only)
; SGPRBlocks: 4
; VGPRBlocks: 23
; NumSGPRsForWavesPerEU: 38
; NumVGPRsForWavesPerEU: 190
; AccumOffset: 192
; Occupancy: 2
; WaveLimiterHint : 1
; COMPUTE_PGM_RSRC2:SCRATCH_EN: 0
; COMPUTE_PGM_RSRC2:USER_SGPR: 2
; COMPUTE_PGM_RSRC2:TRAP_HANDLER: 0
; COMPUTE_PGM_RSRC2:TGID_X_EN: 1
; COMPUTE_PGM_RSRC2:TGID_Y_EN: 0
; COMPUTE_PGM_RSRC2:TGID_Z_EN: 0
; COMPUTE_PGM_RSRC2:TIDIG_COMP_CNT: 0
; COMPUTE_PGM_RSRC3_GFX90A:ACCUM_OFFSET: 47
; COMPUTE_PGM_RSRC3_GFX90A:TG_SPLIT: 0
	.text
	.p2alignl 6, 3212836864
	.fill 256, 4, 3212836864
	.type	__hip_cuid_de816e7d5780114a,@object ; @__hip_cuid_de816e7d5780114a
	.section	.bss,"aw",@nobits
	.globl	__hip_cuid_de816e7d5780114a
__hip_cuid_de816e7d5780114a:
	.byte	0                               ; 0x0
	.size	__hip_cuid_de816e7d5780114a, 1

	.ident	"AMD clang version 19.0.0git (https://github.com/RadeonOpenCompute/llvm-project roc-6.4.0 25133 c7fe45cf4b819c5991fe208aaa96edf142730f1d)"
	.section	".note.GNU-stack","",@progbits
	.addrsig
	.addrsig_sym __hip_cuid_de816e7d5780114a
	.amdgpu_metadata
---
amdhsa.kernels:
  - .agpr_count:     0
    .args:
      - .actual_access:  read_only
        .address_space:  global
        .offset:         0
        .size:           8
        .value_kind:     global_buffer
      - .offset:         8
        .size:           8
        .value_kind:     by_value
      - .actual_access:  read_only
        .address_space:  global
        .offset:         16
        .size:           8
        .value_kind:     global_buffer
      - .actual_access:  read_only
        .address_space:  global
        .offset:         24
        .size:           8
        .value_kind:     global_buffer
      - .actual_access:  read_only
        .address_space:  global
        .offset:         32
        .size:           8
        .value_kind:     global_buffer
      - .offset:         40
        .size:           8
        .value_kind:     by_value
      - .actual_access:  read_only
        .address_space:  global
        .offset:         48
        .size:           8
        .value_kind:     global_buffer
      - .actual_access:  read_only
        .address_space:  global
        .offset:         56
        .size:           8
        .value_kind:     global_buffer
      - .offset:         64
        .size:           4
        .value_kind:     by_value
      - .actual_access:  read_only
        .address_space:  global
        .offset:         72
        .size:           8
        .value_kind:     global_buffer
      - .actual_access:  read_only
        .address_space:  global
        .offset:         80
        .size:           8
        .value_kind:     global_buffer
      - .actual_access:  read_only
        .address_space:  global
        .offset:         88
        .size:           8
        .value_kind:     global_buffer
      - .actual_access:  write_only
        .address_space:  global
        .offset:         96
        .size:           8
        .value_kind:     global_buffer
    .group_segment_fixed_size: 0
    .kernarg_segment_align: 8
    .kernarg_segment_size: 104
    .language:       OpenCL C
    .language_version:
      - 2
      - 0
    .max_flat_workgroup_size: 49
    .name:           fft_rtc_fwd_len2401_factors_7_7_7_7_wgs_49_tpt_49_halfLds_sp_op_CI_CI_sbrr_dirReg
    .private_segment_fixed_size: 0
    .sgpr_count:     38
    .sgpr_spill_count: 0
    .symbol:         fft_rtc_fwd_len2401_factors_7_7_7_7_wgs_49_tpt_49_halfLds_sp_op_CI_CI_sbrr_dirReg.kd
    .uniform_work_group_size: 1
    .uses_dynamic_stack: false
    .vgpr_count:     190
    .vgpr_spill_count: 0
    .wavefront_size: 64
amdhsa.target:   amdgcn-amd-amdhsa--gfx950
amdhsa.version:
  - 1
  - 2
...

	.end_amdgpu_metadata
